;; amdgpu-corpus repo=pytorch/pytorch kind=compiled arch=gfx906 opt=O3
	.amdgcn_target "amdgcn-amd-amdhsa--gfx906"
	.amdhsa_code_object_version 6
	.section	.text._ZN2at6native12_GLOBAL__N_140max_pool3d_with_indices_single_out_frameIdEEvPKT_PS3_Pliiiiiiiiiiiiiiiiiiiiib,"axG",@progbits,_ZN2at6native12_GLOBAL__N_140max_pool3d_with_indices_single_out_frameIdEEvPKT_PS3_Pliiiiiiiiiiiiiiiiiiiiib,comdat
	.globl	_ZN2at6native12_GLOBAL__N_140max_pool3d_with_indices_single_out_frameIdEEvPKT_PS3_Pliiiiiiiiiiiiiiiiiiiiib ; -- Begin function _ZN2at6native12_GLOBAL__N_140max_pool3d_with_indices_single_out_frameIdEEvPKT_PS3_Pliiiiiiiiiiiiiiiiiiiiib
	.p2align	8
	.type	_ZN2at6native12_GLOBAL__N_140max_pool3d_with_indices_single_out_frameIdEEvPKT_PS3_Pliiiiiiiiiiiiiiiiiiiiib,@function
_ZN2at6native12_GLOBAL__N_140max_pool3d_with_indices_single_out_frameIdEEvPKT_PS3_Pliiiiiiiiiiiiiiiiiiiiib: ; @_ZN2at6native12_GLOBAL__N_140max_pool3d_with_indices_single_out_frameIdEEvPKT_PS3_Pliiiiiiiiiiiiiiiiiiiiib
; %bb.0:
	s_load_dwordx16 s[12:27], s[4:5], 0x18
	s_load_dwordx2 s[36:37], s[4:5], 0x68
	s_load_dwordx2 s[10:11], s[4:5], 0x7c
	s_load_dwordx4 s[28:31], s[4:5], 0x58
	s_mov_b64 s[0:1], -1
                                        ; implicit-def: $vgpr5_vgpr6
	s_waitcnt lgkmcnt(0)
	s_mov_b32 s34, s17
	s_bitcmp1_b32 s37, 0
	s_cselect_b64 s[2:3], -1, 0
	s_and_b32 s9, s11, 0xffff
	s_mul_i32 s8, s8, s9
	s_add_i32 s8, s8, s36
	v_add_u32_e32 v8, s8, v2
	s_and_b64 vcc, exec, s[2:3]
                                        ; implicit-def: $vgpr2_vgpr3
	s_cbranch_vccnz .LBB0_2
; %bb.1:
	v_cvt_f32_u32_e32 v2, s17
	s_sub_i32 s0, 0, s17
	v_mov_b32_e32 v6, 0
	v_rcp_iflag_f32_e32 v2, v2
	v_mul_f32_e32 v2, 0x4f7ffffe, v2
	v_cvt_u32_f32_e32 v2, v2
	v_mul_lo_u32 v3, s0, v2
	s_mov_b64 s[0:1], 0
	v_mul_hi_u32 v3, v2, v3
	v_add_u32_e32 v2, v2, v3
	v_mul_hi_u32 v2, v8, v2
	v_mul_lo_u32 v3, v2, s17
	v_add_u32_e32 v4, 1, v2
	v_sub_u32_e32 v3, v8, v3
	v_cmp_le_u32_e32 vcc, s17, v3
	v_cndmask_b32_e32 v2, v2, v4, vcc
	v_subrev_u32_e32 v4, s17, v3
	v_cndmask_b32_e32 v3, v3, v4, vcc
	v_add_u32_e32 v4, 1, v2
	v_cmp_le_u32_e32 vcc, s17, v3
	v_cndmask_b32_e32 v2, v2, v4, vcc
	v_mul_lo_u32 v4, v2, s17
	v_mov_b32_e32 v3, v6
	v_sub_u32_e32 v5, v8, v4
.LBB0_2:
	v_mov_b32_e32 v4, 0
	s_andn2_b64 vcc, exec, s[0:1]
	v_mov_b32_e32 v7, 0
	s_cbranch_vccnz .LBB0_7
; %bb.3:
	v_cvt_f32_u32_e32 v2, s12
	s_sub_i32 s0, 0, s12
	s_ashr_i32 s11, s17, 31
	s_mov_b32 s1, s11
	v_rcp_iflag_f32_e32 v2, v2
	v_mul_f32_e32 v2, 0x4f7ffffe, v2
	v_cvt_u32_f32_e32 v2, v2
	v_mul_lo_u32 v3, s0, v2
	s_mov_b32 s0, 0
	s_cmp_lg_u64 s[0:1], 0
	v_mul_hi_u32 v3, v2, v3
	v_add_u32_e32 v2, v2, v3
	v_mul_hi_u32 v2, v8, v2
	v_mul_lo_u32 v3, v2, s12
	v_add_u32_e32 v4, 1, v2
	v_sub_u32_e32 v3, v8, v3
	v_cmp_le_u32_e32 vcc, s12, v3
	v_cndmask_b32_e32 v2, v2, v4, vcc
	v_subrev_u32_e32 v4, s12, v3
	v_cndmask_b32_e32 v3, v3, v4, vcc
	v_add_u32_e32 v4, 1, v2
	v_cmp_le_u32_e32 vcc, s12, v3
	v_cndmask_b32_e32 v2, v2, v4, vcc
	v_mov_b32_e32 v3, 0
	s_cbranch_scc0 .LBB0_12
; %bb.4:
	s_ashr_i32 s8, s11, 31
	s_add_u32 s0, s34, s8
	s_mov_b32 s9, s8
	s_addc_u32 s1, s11, s8
	s_xor_b64 s[36:37], s[0:1], s[8:9]
	v_cvt_f32_u32_e32 v4, s36
	v_cvt_f32_u32_e32 v5, s37
	s_sub_u32 s9, 0, s36
	s_subb_u32 s33, 0, s37
	v_add_co_u32_e32 v9, vcc, 0, v2
	v_madmk_f32 v4, v5, 0x4f800000, v4
	v_rcp_f32_e32 v4, v4
	v_mul_f32_e32 v4, 0x5f7ffffc, v4
	v_mul_f32_e32 v5, 0x2f800000, v4
	v_trunc_f32_e32 v5, v5
	v_madmk_f32 v4, v5, 0xcf800000, v4
	v_cvt_u32_f32_e32 v5, v5
	v_cvt_u32_f32_e32 v4, v4
	v_readfirstlane_b32 s35, v5
	v_readfirstlane_b32 s0, v4
	s_mul_i32 s1, s9, s35
	s_mul_hi_u32 s39, s9, s0
	s_mul_i32 s38, s33, s0
	s_add_i32 s1, s39, s1
	s_add_i32 s1, s1, s38
	s_mul_i32 s40, s9, s0
	s_mul_i32 s39, s0, s1
	s_mul_hi_u32 s41, s0, s40
	s_mul_hi_u32 s38, s0, s1
	s_add_u32 s39, s41, s39
	s_addc_u32 s38, 0, s38
	s_mul_hi_u32 s42, s35, s40
	s_mul_i32 s40, s35, s40
	s_add_u32 s39, s39, s40
	s_mul_hi_u32 s41, s35, s1
	s_addc_u32 s38, s38, s42
	s_addc_u32 s39, s41, 0
	s_mul_i32 s1, s35, s1
	s_add_u32 s1, s38, s1
	s_addc_u32 s38, 0, s39
	s_add_u32 s39, s0, s1
	s_cselect_b64 s[0:1], -1, 0
	s_cmp_lg_u64 s[0:1], 0
	s_addc_u32 s35, s35, s38
	s_mul_i32 s0, s9, s35
	s_mul_hi_u32 s1, s9, s39
	s_add_i32 s0, s1, s0
	s_mul_i32 s33, s33, s39
	s_add_i32 s0, s0, s33
	s_mul_i32 s9, s9, s39
	s_mul_hi_u32 s33, s35, s9
	s_mul_i32 s38, s35, s9
	s_mul_i32 s41, s39, s0
	s_mul_hi_u32 s9, s39, s9
	s_mul_hi_u32 s40, s39, s0
	s_add_u32 s9, s9, s41
	s_addc_u32 s40, 0, s40
	s_add_u32 s9, s9, s38
	s_mul_hi_u32 s1, s35, s0
	s_addc_u32 s9, s40, s33
	s_addc_u32 s1, s1, 0
	s_mul_i32 s0, s35, s0
	s_add_u32 s0, s9, s0
	s_addc_u32 s9, 0, s1
	s_add_u32 s33, s39, s0
	s_cselect_b64 s[0:1], -1, 0
	s_cmp_lg_u64 s[0:1], 0
	s_addc_u32 s9, s35, s9
	v_mad_u64_u32 v[4:5], s[0:1], v9, s9, 0
	v_mul_hi_u32 v6, v9, s33
	v_addc_co_u32_e64 v10, s[0:1], 0, 0, vcc
	v_add_co_u32_e32 v11, vcc, v6, v4
	v_addc_co_u32_e32 v12, vcc, 0, v5, vcc
	v_mad_u64_u32 v[4:5], s[0:1], v10, s33, 0
	v_mad_u64_u32 v[6:7], s[0:1], v10, s9, 0
	v_add_co_u32_e32 v4, vcc, v11, v4
	v_addc_co_u32_e32 v4, vcc, v12, v5, vcc
	v_addc_co_u32_e32 v5, vcc, 0, v7, vcc
	v_add_co_u32_e32 v6, vcc, v4, v6
	v_addc_co_u32_e32 v7, vcc, 0, v5, vcc
	v_mul_lo_u32 v11, s37, v6
	v_mul_lo_u32 v12, s36, v7
	v_mad_u64_u32 v[4:5], s[0:1], s36, v6, 0
	v_add3_u32 v5, v5, v12, v11
	v_sub_u32_e32 v11, v10, v5
	v_mov_b32_e32 v12, s37
	v_sub_co_u32_e32 v4, vcc, v9, v4
	v_subb_co_u32_e64 v9, s[0:1], v11, v12, vcc
	v_subrev_co_u32_e64 v11, s[0:1], s36, v4
	v_subbrev_co_u32_e64 v9, s[0:1], 0, v9, s[0:1]
	v_cmp_le_u32_e64 s[0:1], s37, v9
	v_cndmask_b32_e64 v12, 0, -1, s[0:1]
	v_cmp_le_u32_e64 s[0:1], s36, v11
	v_cndmask_b32_e64 v11, 0, -1, s[0:1]
	v_cmp_eq_u32_e64 s[0:1], s37, v9
	v_cndmask_b32_e64 v9, v12, v11, s[0:1]
	v_add_co_u32_e64 v11, s[0:1], 2, v6
	v_subb_co_u32_e32 v5, vcc, v10, v5, vcc
	v_addc_co_u32_e64 v12, s[0:1], 0, v7, s[0:1]
	v_cmp_le_u32_e32 vcc, s37, v5
	v_add_co_u32_e64 v13, s[0:1], 1, v6
	v_cndmask_b32_e64 v10, 0, -1, vcc
	v_cmp_le_u32_e32 vcc, s36, v4
	v_addc_co_u32_e64 v14, s[0:1], 0, v7, s[0:1]
	v_cndmask_b32_e64 v4, 0, -1, vcc
	v_cmp_eq_u32_e32 vcc, s37, v5
	v_cmp_ne_u32_e64 s[0:1], 0, v9
	v_cndmask_b32_e32 v4, v10, v4, vcc
	v_cndmask_b32_e64 v9, v14, v12, s[0:1]
	v_cmp_ne_u32_e32 vcc, 0, v4
	v_cndmask_b32_e64 v5, v13, v11, s[0:1]
	v_cndmask_b32_e32 v4, v7, v9, vcc
	v_cndmask_b32_e32 v5, v6, v5, vcc
	v_xor_b32_e32 v6, s8, v4
	v_xor_b32_e32 v4, s8, v5
	v_mov_b32_e32 v5, s8
	v_subrev_co_u32_e32 v4, vcc, s8, v4
	v_subb_co_u32_e32 v5, vcc, v6, v5, vcc
	s_cbranch_execnz .LBB0_6
.LBB0_5:
	v_cvt_f32_u32_e32 v4, s34
	s_sub_i32 s0, 0, s34
	v_rcp_iflag_f32_e32 v4, v4
	v_mul_f32_e32 v4, 0x4f7ffffe, v4
	v_cvt_u32_f32_e32 v4, v4
	v_mul_lo_u32 v5, s0, v4
	v_mul_hi_u32 v5, v4, v5
	v_add_u32_e32 v4, v4, v5
	v_mul_hi_u32 v4, v2, v4
	v_mul_lo_u32 v5, v4, s34
	v_add_u32_e32 v6, 1, v4
	v_sub_u32_e32 v5, v2, v5
	v_subrev_u32_e32 v7, s34, v5
	v_cmp_le_u32_e32 vcc, s34, v5
	v_cndmask_b32_e32 v5, v5, v7, vcc
	v_cndmask_b32_e32 v4, v4, v6, vcc
	v_add_u32_e32 v6, 1, v4
	v_cmp_le_u32_e32 vcc, s34, v5
	v_cndmask_b32_e32 v4, v4, v6, vcc
	v_mov_b32_e32 v5, 0
.LBB0_6:
	v_mul_lo_u32 v9, v5, s34
	v_mul_lo_u32 v10, v4, s11
	v_mad_u64_u32 v[5:6], s[0:1], v4, s34, 0
	v_mul_lo_u32 v7, v2, s12
	v_add3_u32 v6, v6, v10, v9
	v_sub_co_u32_e32 v5, vcc, v2, v5
	v_sub_u32_e32 v7, v8, v7
	v_subb_co_u32_e32 v6, vcc, 0, v6, vcc
.LBB0_7:
	s_lshr_b32 s0, s10, 16
	s_mul_i32 s7, s7, s0
	v_add_u32_e32 v9, s7, v1
	v_mov_b32_e32 v10, 0
	s_ashr_i32 s37, s18, 31
	s_mov_b32 s36, s18
	v_cmp_gt_i64_e32 vcc, s[36:37], v[9:10]
	s_xor_b64 s[40:41], s[2:3], -1
	s_and_saveexec_b64 s[0:1], vcc
	s_cbranch_execz .LBB0_32
; %bb.8:
	s_and_b32 s0, s10, 0xffff
	s_mul_i32 s6, s6, s0
	v_add_u32_e32 v0, s6, v0
	v_mov_b32_e32 v1, v10
	s_ashr_i32 s39, s19, 31
	s_mov_b32 s38, s19
	v_cmp_gt_i64_e32 vcc, s[38:39], v[0:1]
	s_and_b64 exec, exec, vcc
	s_cbranch_execz .LBB0_32
; %bb.9:
	s_ashr_i32 s35, s17, 31
	v_cmp_gt_i64_e32 vcc, s[34:35], v[5:6]
	v_cmp_gt_i32_e64 s[0:1], s12, v7
	s_and_b64 s[0:1], s[0:1], vcc
	v_cmp_gt_i32_e32 vcc, s16, v4
	s_and_b64 s[0:1], s[0:1], vcc
	s_and_b64 exec, exec, s[0:1]
	s_cbranch_execz .LBB0_32
; %bb.10:
	s_max_u32 s7, s29, 1
	v_cvt_f32_u32_e32 v8, s7
	s_sub_i32 s0, 0, s7
	v_mul_lo_u32 v13, s23, v5
	s_max_u32 s6, s30, 1
	v_rcp_iflag_f32_e32 v8, v8
	v_cvt_f32_u32_e32 v12, s6
	v_subrev_u32_e32 v21, s26, v13
	v_max_i32_e32 v11, 0, v21
	v_mul_f32_e32 v8, 0x4f7ffffe, v8
	v_cvt_u32_f32_e32 v8, v8
	v_add_u32_e32 v11, s26, v11
	v_rcp_iflag_f32_e32 v12, v12
	v_cmp_ne_u32_e32 vcc, v11, v13
	v_mul_lo_u32 v14, s0, v8
	s_max_u32 s18, s31, 1
	v_cndmask_b32_e64 v23, 0, 1, vcc
	v_add_u32_e32 v15, v13, v23
	v_mul_hi_u32 v14, v8, v14
	v_sub_u32_e32 v26, v11, v15
	v_mul_f32_e32 v11, 0x4f7ffffe, v12
	v_mul_lo_u32 v18, v9, s24
	v_add_u32_e32 v8, v8, v14
	v_cvt_f32_u32_e32 v14, s18
	v_cvt_u32_f32_e32 v11, v11
	s_sub_i32 s0, 0, s6
	v_subrev_u32_e32 v20, s27, v18
	v_rcp_iflag_f32_e32 v14, v14
	v_mul_lo_u32 v15, s0, v11
	v_max_i32_e32 v12, 0, v20
	v_add_u32_e32 v12, s27, v12
	v_mul_f32_e32 v14, 0x4f7ffffe, v14
	v_cvt_u32_f32_e32 v14, v14
	v_mul_lo_u32 v19, v0, s25
	v_cmp_ne_u32_e32 vcc, v12, v18
	v_cndmask_b32_e64 v24, 0, 1, vcc
	v_mul_hi_u32 v15, v11, v15
	v_add_u32_e32 v16, v18, v24
	s_sub_i32 s0, 0, s18
	v_sub_u32_e32 v28, v12, v16
	v_mul_lo_u32 v12, s0, v14
	v_subrev_u32_e32 v22, s28, v19
	v_add_u32_e32 v11, v11, v15
	v_max_i32_e32 v15, 0, v22
	v_add_u32_e32 v15, s28, v15
	v_mul_hi_u32 v12, v14, v12
	v_cmp_ne_u32_e32 vcc, v15, v19
	v_cndmask_b32_e64 v25, 0, 1, vcc
	v_add_u32_e32 v16, v19, v25
	v_sub_u32_e32 v27, v15, v16
	v_mad_u64_u32 v[16:17], s[0:1], v26, v8, 0
	v_add_u32_e32 v12, v14, v12
	s_load_dwordx4 s[8:11], s[4:5], 0x0
	v_mad_u64_u32 v[15:16], s[0:1], v28, v11, 0
	v_mad_u64_u32 v[14:15], s[0:1], v27, v12, 0
	s_andn2_b64 vcc, exec, s[40:41]
	s_cbranch_vccnz .LBB0_13
; %bb.11:
	s_ashr_i32 s0, s15, 31
	s_mul_i32 s16, s14, s13
	s_mul_hi_i32 s1, s14, s13
	s_mul_i32 s0, s16, s0
	s_mul_hi_u32 s17, s16, s15
	s_add_i32 s0, s17, s0
	s_mul_i32 s1, s1, s15
	s_add_i32 s0, s0, s1
	s_mul_i32 s16, s16, s15
	v_mul_lo_u32 v8, s0, v2
	v_mul_lo_u32 v14, s16, v3
	v_mad_u64_u32 v[11:12], s[0:1], s16, v2, 0
	v_add3_u32 v12, v12, v14, v8
	v_lshlrev_b64 v[11:12], 3, v[11:12]
	s_waitcnt lgkmcnt(0)
	v_mov_b32_e32 v8, s9
	v_add_co_u32_e32 v11, vcc, s8, v11
	v_addc_co_u32_e32 v12, vcc, v8, v12, vcc
	s_load_dwordx2 s[16:17], s[4:5], 0x10
	v_ashrrev_i32_e32 v8, 31, v7
	s_cbranch_execz .LBB0_14
	s_branch .LBB0_15
.LBB0_12:
                                        ; implicit-def: $vgpr4_vgpr5
	s_branch .LBB0_5
.LBB0_13:
                                        ; implicit-def: $vgpr11_vgpr12
	s_load_dwordx2 s[16:17], s[4:5], 0x10
	v_ashrrev_i32_e32 v8, 31, v7
.LBB0_14:
	s_ashr_i32 s0, s14, 31
	s_mul_i32 s5, s13, s12
	s_mul_hi_i32 s4, s13, s12
	s_mul_i32 s0, s5, s0
	s_mul_hi_u32 s19, s5, s14
	s_add_i32 s0, s19, s0
	s_mul_i32 s4, s4, s14
	s_ashr_i32 s1, s15, 31
	s_add_i32 s0, s0, s4
	s_mul_i32 s4, s5, s14
	s_mul_i32 s1, s4, s1
	s_mul_hi_u32 s5, s4, s15
	s_add_i32 s1, s5, s1
	s_mul_i32 s0, s0, s15
	v_ashrrev_i32_e32 v11, 31, v4
	s_add_i32 s1, s1, s0
	s_mul_i32 s4, s4, s15
	v_mul_lo_u32 v14, s1, v4
	v_mul_lo_u32 v29, s4, v11
	v_mad_u64_u32 v[11:12], s[0:1], s4, v4, 0
	v_add3_u32 v12, v12, v29, v14
	v_lshlrev_b64 v[11:12], 3, v[11:12]
	s_waitcnt lgkmcnt(0)
	v_mov_b32_e32 v14, s9
	v_add_co_u32_e32 v29, vcc, s8, v11
	v_addc_co_u32_e32 v14, vcc, v14, v12, vcc
	v_lshlrev_b64 v[11:12], 3, v[7:8]
	v_add_co_u32_e32 v11, vcc, v29, v11
	v_addc_co_u32_e32 v12, vcc, v14, v12, vcc
.LBB0_15:
	v_mul_lo_u32 v14, v17, s7
	v_add_u32_e32 v29, 1, v17
	s_add_i32 s4, s20, -1
	v_sub_u32_e32 v14, v26, v14
	v_cmp_le_u32_e32 vcc, s7, v14
	v_subrev_u32_e32 v26, s7, v14
	v_cndmask_b32_e32 v17, v17, v29, vcc
	v_cndmask_b32_e32 v14, v14, v26, vcc
	v_add_u32_e32 v26, 1, v17
	v_cmp_le_u32_e32 vcc, s7, v14
	v_cndmask_b32_e32 v14, v17, v26, vcc
	v_mul_lo_u32 v17, v16, s6
	v_add_u32_e32 v14, v14, v23
	v_mad_u64_u32 v[13:14], s[0:1], s29, v14, v[13:14]
	v_sub_u32_e32 v14, v28, v17
	v_add_u32_e32 v17, 1, v16
	v_cmp_le_u32_e32 vcc, s6, v14
	v_cndmask_b32_e32 v16, v16, v17, vcc
	v_subrev_u32_e32 v17, s6, v14
	v_cndmask_b32_e32 v14, v14, v17, vcc
	v_mul_lo_u32 v23, v15, s18
	v_add_u32_e32 v17, 1, v16
	v_cmp_le_u32_e32 vcc, s6, v14
	v_cndmask_b32_e32 v14, v16, v17, vcc
	v_add_u32_e32 v14, v14, v24
	v_mul_lo_u32 v28, s30, v14
	v_sub_u32_e32 v14, v27, v23
	v_add_u32_e32 v16, 1, v15
	v_cmp_le_u32_e32 vcc, s18, v14
	v_cndmask_b32_e32 v15, v15, v16, vcc
	v_subrev_u32_e32 v16, s18, v14
	v_cndmask_b32_e32 v14, v14, v16, vcc
	v_add_u32_e32 v16, 1, v15
	v_cmp_le_u32_e32 vcc, s18, v14
	v_cndmask_b32_e32 v14, v15, v16, vcc
	v_add_u32_e32 v14, v14, v25
	v_mul_lo_u32 v29, s31, v14
	v_subrev_u32_e32 v23, s26, v13
	v_mul_lo_u32 v30, v23, s14
	v_add_u32_e32 v14, v28, v18
	v_add_u32_e32 v13, v29, v19
	v_subrev_u32_e32 v24, s27, v14
	v_subrev_u32_e32 v17, s28, v13
	v_add_u32_e32 v13, v24, v30
	v_mad_u64_u32 v[13:14], s[0:1], v13, s15, v[17:18]
	s_mul_i32 s0, s29, s4
	v_add3_u32 v14, s0, 1, v21
	v_min_i32_e32 v25, s13, v14
	v_mov_b32_e32 v15, 0
	v_ashrrev_i32_e32 v14, 31, v13
	v_mov_b32_e32 v16, 0xfff00000
	v_cmp_lt_i32_e32 vcc, v23, v25
	s_waitcnt lgkmcnt(0)
	s_and_saveexec_b64 s[8:9], vcc
	s_cbranch_execz .LBB0_27
; %bb.16:
	s_add_i32 s0, s21, -1
	s_mul_i32 s0, s30, s0
	v_add3_u32 v15, s0, 1, v20
	v_min_i32_e32 v27, s14, v15
	v_add3_u32 v15, v30, v18, v28
	v_subrev_u32_e32 v15, s27, v15
	v_mul_lo_u32 v15, s15, v15
	s_add_i32 s0, s22, -1
	s_and_b64 s[2:3], exec, s[2:3]
	s_cselect_b32 s33, s12, 1
	v_add3_u32 v15, v15, v19, v29
	v_subrev_u32_e32 v28, s28, v15
	s_mul_i32 s0, s31, s0
	v_mul_lo_u32 v29, s33, v28
	v_add3_u32 v16, s0, 1, v22
	s_mul_i32 s13, s29, s15
	v_min_i32_e32 v26, s15, v16
	s_mul_i32 s13, s13, s14
	s_mul_i32 s27, s30, s15
	v_mov_b32_e32 v15, 0
	v_cmp_lt_i32_e32 vcc, v24, v27
	v_cmp_lt_i32_e64 s[0:1], v17, v26
	s_mul_i32 s26, s13, s33
	s_mul_i32 s28, s27, s33
	;; [unrolled: 1-line block ×3, first 2 shown]
	s_ashr_i32 s42, s31, 31
	s_mov_b32 s43, s31
	v_mov_b32_e32 v16, 0xfff00000
	s_mov_b64 s[14:15], 0
	s_branch .LBB0_19
.LBB0_17:                               ;   in Loop: Header=BB0_19 Depth=1
	s_or_b64 exec, exec, s[20:21]
.LBB0_18:                               ;   in Loop: Header=BB0_19 Depth=1
	s_or_b64 exec, exec, s[18:19]
	v_add_u32_e32 v23, s29, v23
	v_cmp_ge_i32_e64 s[2:3], v23, v25
	v_add_u32_e32 v29, s26, v29
	s_or_b64 s[14:15], s[2:3], s[14:15]
	v_add_u32_e32 v28, s13, v28
	s_andn2_b64 exec, exec, s[14:15]
	s_cbranch_execz .LBB0_26
.LBB0_19:                               ; =>This Loop Header: Depth=1
                                        ;     Child Loop BB0_22 Depth 2
                                        ;       Child Loop BB0_24 Depth 3
	s_and_saveexec_b64 s[18:19], vcc
	s_cbranch_execz .LBB0_18
; %bb.20:                               ;   in Loop: Header=BB0_19 Depth=1
	s_mov_b64 s[20:21], 0
	v_mov_b32_e32 v18, v28
	v_mov_b32_e32 v30, v29
	;; [unrolled: 1-line block ×3, first 2 shown]
	s_branch .LBB0_22
.LBB0_21:                               ;   in Loop: Header=BB0_22 Depth=2
	s_or_b64 exec, exec, s[22:23]
	v_add_u32_e32 v31, s30, v31
	v_cmp_ge_i32_e64 s[2:3], v31, v27
	v_add_u32_e32 v30, s28, v30
	s_or_b64 s[20:21], s[2:3], s[20:21]
	v_add_u32_e32 v18, s27, v18
	s_andn2_b64 exec, exec, s[20:21]
	s_cbranch_execz .LBB0_17
.LBB0_22:                               ;   Parent Loop BB0_19 Depth=1
                                        ; =>  This Loop Header: Depth=2
                                        ;       Child Loop BB0_24 Depth 3
	v_ashrrev_i32_e32 v19, 31, v18
	s_and_saveexec_b64 s[22:23], s[0:1]
	s_cbranch_execz .LBB0_21
; %bb.23:                               ;   in Loop: Header=BB0_22 Depth=2
	v_mov_b32_e32 v20, v19
	s_mov_b64 s[24:25], 0
	v_mov_b32_e32 v19, v18
	v_mov_b32_e32 v21, v30
	;; [unrolled: 1-line block ×3, first 2 shown]
.LBB0_24:                               ;   Parent Loop BB0_19 Depth=1
                                        ;     Parent Loop BB0_22 Depth=2
                                        ; =>    This Inner Loop Header: Depth=3
	v_ashrrev_i32_e32 v22, 31, v21
	v_lshlrev_b64 v[33:34], 3, v[21:22]
	v_add_u32_e32 v32, s31, v32
	v_add_co_u32_e64 v33, s[2:3], v11, v33
	v_addc_co_u32_e64 v34, s[2:3], v12, v34, s[2:3]
	global_load_dwordx2 v[33:34], v[33:34], off
	v_cmp_ge_i32_e64 s[2:3], v32, v26
	v_mov_b32_e32 v22, s42
	v_add_u32_e32 v21, s33, v21
	s_waitcnt vmcnt(0)
	v_cmp_lt_f64_e64 s[4:5], v[15:16], v[33:34]
	v_cmp_u_f64_e64 s[6:7], v[33:34], v[33:34]
	s_or_b64 s[4:5], s[4:5], s[6:7]
	v_cndmask_b32_e64 v13, v13, v19, s[4:5]
	s_or_b64 s[24:25], s[2:3], s[24:25]
	v_add_co_u32_e64 v19, s[2:3], s43, v19
	v_cndmask_b32_e64 v14, v14, v20, s[4:5]
	v_cndmask_b32_e64 v16, v16, v34, s[4:5]
	;; [unrolled: 1-line block ×3, first 2 shown]
	v_addc_co_u32_e64 v20, s[2:3], v20, v22, s[2:3]
	s_andn2_b64 exec, exec, s[24:25]
	s_cbranch_execnz .LBB0_24
; %bb.25:                               ;   in Loop: Header=BB0_22 Depth=2
	s_or_b64 exec, exec, s[24:25]
	s_branch .LBB0_21
.LBB0_26:
	s_or_b64 exec, exec, s[14:15]
.LBB0_27:
	s_or_b64 exec, exec, s[8:9]
	s_and_b64 vcc, exec, s[40:41]
	s_cbranch_vccz .LBB0_29
; %bb.28:
	v_mad_u64_u32 v[11:12], s[0:1], v2, s34, v[5:6]
	v_mul_lo_u32 v2, v2, s35
	v_mul_lo_u32 v3, v3, s34
	;; [unrolled: 1-line block ×3, first 2 shown]
	v_add3_u32 v12, v3, v12, v2
	v_mad_u64_u32 v[2:3], s[0:1], v11, s36, v[9:10]
	v_mul_lo_u32 v11, v12, s36
	v_mul_lo_u32 v12, v2, s39
	v_add3_u32 v11, v11, v3, v17
	v_mad_u64_u32 v[2:3], s[0:1], v2, s38, v[0:1]
	v_mul_lo_u32 v11, v11, s38
	v_add3_u32 v3, v11, v3, v12
	s_cbranch_execz .LBB0_30
	s_branch .LBB0_31
.LBB0_29:
                                        ; implicit-def: $vgpr2_vgpr3
.LBB0_30:
	v_mad_i64_i32 v[2:3], s[0:1], v4, s34, v[5:6]
	v_mul_lo_u32 v4, v2, s37
	v_mul_lo_u32 v5, v3, s36
	v_mad_u64_u32 v[2:3], s[0:1], v2, s36, v[9:10]
	v_add3_u32 v3, v5, v3, v4
	v_mul_lo_u32 v4, v2, s39
	v_mad_u64_u32 v[0:1], s[0:1], v2, s38, v[0:1]
	v_mul_lo_u32 v2, v3, s38
	s_ashr_i32 s0, s12, 31
	v_mul_lo_u32 v5, v0, s0
	v_add3_u32 v1, v2, v1, v4
	v_mul_lo_u32 v1, v1, s12
	v_mad_u64_u32 v[2:3], s[0:1], v0, s12, v[7:8]
	v_add3_u32 v3, v1, v3, v5
.LBB0_31:
	v_lshlrev_b64 v[0:1], 3, v[2:3]
	v_mov_b32_e32 v3, s11
	v_add_co_u32_e32 v2, vcc, s10, v0
	v_addc_co_u32_e32 v3, vcc, v3, v1, vcc
	global_store_dwordx2 v[2:3], v[15:16], off
	v_mov_b32_e32 v2, s17
	v_add_co_u32_e32 v0, vcc, s16, v0
	v_addc_co_u32_e32 v1, vcc, v2, v1, vcc
	global_store_dwordx2 v[0:1], v[13:14], off
.LBB0_32:
	s_endpgm
	.section	.rodata,"a",@progbits
	.p2align	6, 0x0
	.amdhsa_kernel _ZN2at6native12_GLOBAL__N_140max_pool3d_with_indices_single_out_frameIdEEvPKT_PS3_Pliiiiiiiiiiiiiiiiiiiiib
		.amdhsa_group_segment_fixed_size 0
		.amdhsa_private_segment_fixed_size 0
		.amdhsa_kernarg_size 368
		.amdhsa_user_sgpr_count 6
		.amdhsa_user_sgpr_private_segment_buffer 1
		.amdhsa_user_sgpr_dispatch_ptr 0
		.amdhsa_user_sgpr_queue_ptr 0
		.amdhsa_user_sgpr_kernarg_segment_ptr 1
		.amdhsa_user_sgpr_dispatch_id 0
		.amdhsa_user_sgpr_flat_scratch_init 0
		.amdhsa_user_sgpr_private_segment_size 0
		.amdhsa_uses_dynamic_stack 0
		.amdhsa_system_sgpr_private_segment_wavefront_offset 0
		.amdhsa_system_sgpr_workgroup_id_x 1
		.amdhsa_system_sgpr_workgroup_id_y 1
		.amdhsa_system_sgpr_workgroup_id_z 1
		.amdhsa_system_sgpr_workgroup_info 0
		.amdhsa_system_vgpr_workitem_id 2
		.amdhsa_next_free_vgpr 35
		.amdhsa_next_free_sgpr 44
		.amdhsa_reserve_vcc 1
		.amdhsa_reserve_flat_scratch 0
		.amdhsa_float_round_mode_32 0
		.amdhsa_float_round_mode_16_64 0
		.amdhsa_float_denorm_mode_32 3
		.amdhsa_float_denorm_mode_16_64 3
		.amdhsa_dx10_clamp 1
		.amdhsa_ieee_mode 1
		.amdhsa_fp16_overflow 0
		.amdhsa_exception_fp_ieee_invalid_op 0
		.amdhsa_exception_fp_denorm_src 0
		.amdhsa_exception_fp_ieee_div_zero 0
		.amdhsa_exception_fp_ieee_overflow 0
		.amdhsa_exception_fp_ieee_underflow 0
		.amdhsa_exception_fp_ieee_inexact 0
		.amdhsa_exception_int_div_zero 0
	.end_amdhsa_kernel
	.section	.text._ZN2at6native12_GLOBAL__N_140max_pool3d_with_indices_single_out_frameIdEEvPKT_PS3_Pliiiiiiiiiiiiiiiiiiiiib,"axG",@progbits,_ZN2at6native12_GLOBAL__N_140max_pool3d_with_indices_single_out_frameIdEEvPKT_PS3_Pliiiiiiiiiiiiiiiiiiiiib,comdat
.Lfunc_end0:
	.size	_ZN2at6native12_GLOBAL__N_140max_pool3d_with_indices_single_out_frameIdEEvPKT_PS3_Pliiiiiiiiiiiiiiiiiiiiib, .Lfunc_end0-_ZN2at6native12_GLOBAL__N_140max_pool3d_with_indices_single_out_frameIdEEvPKT_PS3_Pliiiiiiiiiiiiiiiiiiiiib
                                        ; -- End function
	.set _ZN2at6native12_GLOBAL__N_140max_pool3d_with_indices_single_out_frameIdEEvPKT_PS3_Pliiiiiiiiiiiiiiiiiiiiib.num_vgpr, 35
	.set _ZN2at6native12_GLOBAL__N_140max_pool3d_with_indices_single_out_frameIdEEvPKT_PS3_Pliiiiiiiiiiiiiiiiiiiiib.num_agpr, 0
	.set _ZN2at6native12_GLOBAL__N_140max_pool3d_with_indices_single_out_frameIdEEvPKT_PS3_Pliiiiiiiiiiiiiiiiiiiiib.numbered_sgpr, 44
	.set _ZN2at6native12_GLOBAL__N_140max_pool3d_with_indices_single_out_frameIdEEvPKT_PS3_Pliiiiiiiiiiiiiiiiiiiiib.num_named_barrier, 0
	.set _ZN2at6native12_GLOBAL__N_140max_pool3d_with_indices_single_out_frameIdEEvPKT_PS3_Pliiiiiiiiiiiiiiiiiiiiib.private_seg_size, 0
	.set _ZN2at6native12_GLOBAL__N_140max_pool3d_with_indices_single_out_frameIdEEvPKT_PS3_Pliiiiiiiiiiiiiiiiiiiiib.uses_vcc, 1
	.set _ZN2at6native12_GLOBAL__N_140max_pool3d_with_indices_single_out_frameIdEEvPKT_PS3_Pliiiiiiiiiiiiiiiiiiiiib.uses_flat_scratch, 0
	.set _ZN2at6native12_GLOBAL__N_140max_pool3d_with_indices_single_out_frameIdEEvPKT_PS3_Pliiiiiiiiiiiiiiiiiiiiib.has_dyn_sized_stack, 0
	.set _ZN2at6native12_GLOBAL__N_140max_pool3d_with_indices_single_out_frameIdEEvPKT_PS3_Pliiiiiiiiiiiiiiiiiiiiib.has_recursion, 0
	.set _ZN2at6native12_GLOBAL__N_140max_pool3d_with_indices_single_out_frameIdEEvPKT_PS3_Pliiiiiiiiiiiiiiiiiiiiib.has_indirect_call, 0
	.section	.AMDGPU.csdata,"",@progbits
; Kernel info:
; codeLenInByte = 2760
; TotalNumSgprs: 48
; NumVgprs: 35
; ScratchSize: 0
; MemoryBound: 0
; FloatMode: 240
; IeeeMode: 1
; LDSByteSize: 0 bytes/workgroup (compile time only)
; SGPRBlocks: 5
; VGPRBlocks: 8
; NumSGPRsForWavesPerEU: 48
; NumVGPRsForWavesPerEU: 35
; Occupancy: 7
; WaveLimiterHint : 0
; COMPUTE_PGM_RSRC2:SCRATCH_EN: 0
; COMPUTE_PGM_RSRC2:USER_SGPR: 6
; COMPUTE_PGM_RSRC2:TRAP_HANDLER: 0
; COMPUTE_PGM_RSRC2:TGID_X_EN: 1
; COMPUTE_PGM_RSRC2:TGID_Y_EN: 1
; COMPUTE_PGM_RSRC2:TGID_Z_EN: 1
; COMPUTE_PGM_RSRC2:TIDIG_COMP_CNT: 2
	.section	.text._ZN2at6native12_GLOBAL__N_140max_pool3d_with_indices_single_out_frameIfEEvPKT_PS3_Pliiiiiiiiiiiiiiiiiiiiib,"axG",@progbits,_ZN2at6native12_GLOBAL__N_140max_pool3d_with_indices_single_out_frameIfEEvPKT_PS3_Pliiiiiiiiiiiiiiiiiiiiib,comdat
	.globl	_ZN2at6native12_GLOBAL__N_140max_pool3d_with_indices_single_out_frameIfEEvPKT_PS3_Pliiiiiiiiiiiiiiiiiiiiib ; -- Begin function _ZN2at6native12_GLOBAL__N_140max_pool3d_with_indices_single_out_frameIfEEvPKT_PS3_Pliiiiiiiiiiiiiiiiiiiiib
	.p2align	8
	.type	_ZN2at6native12_GLOBAL__N_140max_pool3d_with_indices_single_out_frameIfEEvPKT_PS3_Pliiiiiiiiiiiiiiiiiiiiib,@function
_ZN2at6native12_GLOBAL__N_140max_pool3d_with_indices_single_out_frameIfEEvPKT_PS3_Pliiiiiiiiiiiiiiiiiiiiib: ; @_ZN2at6native12_GLOBAL__N_140max_pool3d_with_indices_single_out_frameIfEEvPKT_PS3_Pliiiiiiiiiiiiiiiiiiiiib
; %bb.0:
	s_load_dwordx16 s[12:27], s[4:5], 0x18
	s_load_dwordx2 s[36:37], s[4:5], 0x68
	s_load_dwordx2 s[10:11], s[4:5], 0x7c
	s_load_dwordx4 s[28:31], s[4:5], 0x58
	s_mov_b64 s[0:1], -1
                                        ; implicit-def: $vgpr5_vgpr6
	s_waitcnt lgkmcnt(0)
	s_mov_b32 s34, s17
	s_bitcmp1_b32 s37, 0
	s_cselect_b64 s[2:3], -1, 0
	s_and_b32 s9, s11, 0xffff
	s_mul_i32 s8, s8, s9
	s_add_i32 s8, s8, s36
	v_add_u32_e32 v8, s8, v2
	s_and_b64 vcc, exec, s[2:3]
                                        ; implicit-def: $vgpr2_vgpr3
	s_cbranch_vccnz .LBB1_2
; %bb.1:
	v_cvt_f32_u32_e32 v2, s17
	s_sub_i32 s0, 0, s17
	v_mov_b32_e32 v6, 0
	v_rcp_iflag_f32_e32 v2, v2
	v_mul_f32_e32 v2, 0x4f7ffffe, v2
	v_cvt_u32_f32_e32 v2, v2
	v_mul_lo_u32 v3, s0, v2
	s_mov_b64 s[0:1], 0
	v_mul_hi_u32 v3, v2, v3
	v_add_u32_e32 v2, v2, v3
	v_mul_hi_u32 v2, v8, v2
	v_mul_lo_u32 v3, v2, s17
	v_add_u32_e32 v4, 1, v2
	v_sub_u32_e32 v3, v8, v3
	v_cmp_le_u32_e32 vcc, s17, v3
	v_cndmask_b32_e32 v2, v2, v4, vcc
	v_subrev_u32_e32 v4, s17, v3
	v_cndmask_b32_e32 v3, v3, v4, vcc
	v_add_u32_e32 v4, 1, v2
	v_cmp_le_u32_e32 vcc, s17, v3
	v_cndmask_b32_e32 v2, v2, v4, vcc
	v_mul_lo_u32 v4, v2, s17
	v_mov_b32_e32 v3, v6
	v_sub_u32_e32 v5, v8, v4
.LBB1_2:
	v_mov_b32_e32 v4, 0
	s_andn2_b64 vcc, exec, s[0:1]
	v_mov_b32_e32 v7, 0
	s_cbranch_vccnz .LBB1_7
; %bb.3:
	v_cvt_f32_u32_e32 v2, s12
	s_sub_i32 s0, 0, s12
	s_ashr_i32 s11, s17, 31
	s_mov_b32 s1, s11
	v_rcp_iflag_f32_e32 v2, v2
	v_mul_f32_e32 v2, 0x4f7ffffe, v2
	v_cvt_u32_f32_e32 v2, v2
	v_mul_lo_u32 v3, s0, v2
	s_mov_b32 s0, 0
	s_cmp_lg_u64 s[0:1], 0
	v_mul_hi_u32 v3, v2, v3
	v_add_u32_e32 v2, v2, v3
	v_mul_hi_u32 v2, v8, v2
	v_mul_lo_u32 v3, v2, s12
	v_add_u32_e32 v4, 1, v2
	v_sub_u32_e32 v3, v8, v3
	v_cmp_le_u32_e32 vcc, s12, v3
	v_cndmask_b32_e32 v2, v2, v4, vcc
	v_subrev_u32_e32 v4, s12, v3
	v_cndmask_b32_e32 v3, v3, v4, vcc
	v_add_u32_e32 v4, 1, v2
	v_cmp_le_u32_e32 vcc, s12, v3
	v_cndmask_b32_e32 v2, v2, v4, vcc
	v_mov_b32_e32 v3, 0
	s_cbranch_scc0 .LBB1_12
; %bb.4:
	s_ashr_i32 s8, s11, 31
	s_add_u32 s0, s34, s8
	s_mov_b32 s9, s8
	s_addc_u32 s1, s11, s8
	s_xor_b64 s[36:37], s[0:1], s[8:9]
	v_cvt_f32_u32_e32 v4, s36
	v_cvt_f32_u32_e32 v5, s37
	s_sub_u32 s9, 0, s36
	s_subb_u32 s33, 0, s37
	v_add_co_u32_e32 v9, vcc, 0, v2
	v_madmk_f32 v4, v5, 0x4f800000, v4
	v_rcp_f32_e32 v4, v4
	v_mul_f32_e32 v4, 0x5f7ffffc, v4
	v_mul_f32_e32 v5, 0x2f800000, v4
	v_trunc_f32_e32 v5, v5
	v_madmk_f32 v4, v5, 0xcf800000, v4
	v_cvt_u32_f32_e32 v5, v5
	v_cvt_u32_f32_e32 v4, v4
	v_readfirstlane_b32 s35, v5
	v_readfirstlane_b32 s0, v4
	s_mul_i32 s1, s9, s35
	s_mul_hi_u32 s39, s9, s0
	s_mul_i32 s38, s33, s0
	s_add_i32 s1, s39, s1
	s_add_i32 s1, s1, s38
	s_mul_i32 s40, s9, s0
	s_mul_i32 s39, s0, s1
	s_mul_hi_u32 s41, s0, s40
	s_mul_hi_u32 s38, s0, s1
	s_add_u32 s39, s41, s39
	s_addc_u32 s38, 0, s38
	s_mul_hi_u32 s42, s35, s40
	s_mul_i32 s40, s35, s40
	s_add_u32 s39, s39, s40
	s_mul_hi_u32 s41, s35, s1
	s_addc_u32 s38, s38, s42
	s_addc_u32 s39, s41, 0
	s_mul_i32 s1, s35, s1
	s_add_u32 s1, s38, s1
	s_addc_u32 s38, 0, s39
	s_add_u32 s39, s0, s1
	s_cselect_b64 s[0:1], -1, 0
	s_cmp_lg_u64 s[0:1], 0
	s_addc_u32 s35, s35, s38
	s_mul_i32 s0, s9, s35
	s_mul_hi_u32 s1, s9, s39
	s_add_i32 s0, s1, s0
	s_mul_i32 s33, s33, s39
	s_add_i32 s0, s0, s33
	s_mul_i32 s9, s9, s39
	s_mul_hi_u32 s33, s35, s9
	s_mul_i32 s38, s35, s9
	s_mul_i32 s41, s39, s0
	s_mul_hi_u32 s9, s39, s9
	s_mul_hi_u32 s40, s39, s0
	s_add_u32 s9, s9, s41
	s_addc_u32 s40, 0, s40
	s_add_u32 s9, s9, s38
	s_mul_hi_u32 s1, s35, s0
	s_addc_u32 s9, s40, s33
	s_addc_u32 s1, s1, 0
	s_mul_i32 s0, s35, s0
	s_add_u32 s0, s9, s0
	s_addc_u32 s9, 0, s1
	s_add_u32 s33, s39, s0
	s_cselect_b64 s[0:1], -1, 0
	s_cmp_lg_u64 s[0:1], 0
	s_addc_u32 s9, s35, s9
	v_mad_u64_u32 v[4:5], s[0:1], v9, s9, 0
	v_mul_hi_u32 v6, v9, s33
	v_addc_co_u32_e64 v10, s[0:1], 0, 0, vcc
	v_add_co_u32_e32 v11, vcc, v6, v4
	v_addc_co_u32_e32 v12, vcc, 0, v5, vcc
	v_mad_u64_u32 v[4:5], s[0:1], v10, s33, 0
	v_mad_u64_u32 v[6:7], s[0:1], v10, s9, 0
	v_add_co_u32_e32 v4, vcc, v11, v4
	v_addc_co_u32_e32 v4, vcc, v12, v5, vcc
	v_addc_co_u32_e32 v5, vcc, 0, v7, vcc
	v_add_co_u32_e32 v6, vcc, v4, v6
	v_addc_co_u32_e32 v7, vcc, 0, v5, vcc
	v_mul_lo_u32 v11, s37, v6
	v_mul_lo_u32 v12, s36, v7
	v_mad_u64_u32 v[4:5], s[0:1], s36, v6, 0
	v_add3_u32 v5, v5, v12, v11
	v_sub_u32_e32 v11, v10, v5
	v_mov_b32_e32 v12, s37
	v_sub_co_u32_e32 v4, vcc, v9, v4
	v_subb_co_u32_e64 v9, s[0:1], v11, v12, vcc
	v_subrev_co_u32_e64 v11, s[0:1], s36, v4
	v_subbrev_co_u32_e64 v9, s[0:1], 0, v9, s[0:1]
	v_cmp_le_u32_e64 s[0:1], s37, v9
	v_cndmask_b32_e64 v12, 0, -1, s[0:1]
	v_cmp_le_u32_e64 s[0:1], s36, v11
	v_cndmask_b32_e64 v11, 0, -1, s[0:1]
	v_cmp_eq_u32_e64 s[0:1], s37, v9
	v_cndmask_b32_e64 v9, v12, v11, s[0:1]
	v_add_co_u32_e64 v11, s[0:1], 2, v6
	v_subb_co_u32_e32 v5, vcc, v10, v5, vcc
	v_addc_co_u32_e64 v12, s[0:1], 0, v7, s[0:1]
	v_cmp_le_u32_e32 vcc, s37, v5
	v_add_co_u32_e64 v13, s[0:1], 1, v6
	v_cndmask_b32_e64 v10, 0, -1, vcc
	v_cmp_le_u32_e32 vcc, s36, v4
	v_addc_co_u32_e64 v14, s[0:1], 0, v7, s[0:1]
	v_cndmask_b32_e64 v4, 0, -1, vcc
	v_cmp_eq_u32_e32 vcc, s37, v5
	v_cmp_ne_u32_e64 s[0:1], 0, v9
	v_cndmask_b32_e32 v4, v10, v4, vcc
	v_cndmask_b32_e64 v9, v14, v12, s[0:1]
	v_cmp_ne_u32_e32 vcc, 0, v4
	v_cndmask_b32_e64 v5, v13, v11, s[0:1]
	v_cndmask_b32_e32 v4, v7, v9, vcc
	v_cndmask_b32_e32 v5, v6, v5, vcc
	v_xor_b32_e32 v6, s8, v4
	v_xor_b32_e32 v4, s8, v5
	v_mov_b32_e32 v5, s8
	v_subrev_co_u32_e32 v4, vcc, s8, v4
	v_subb_co_u32_e32 v5, vcc, v6, v5, vcc
	s_cbranch_execnz .LBB1_6
.LBB1_5:
	v_cvt_f32_u32_e32 v4, s34
	s_sub_i32 s0, 0, s34
	v_rcp_iflag_f32_e32 v4, v4
	v_mul_f32_e32 v4, 0x4f7ffffe, v4
	v_cvt_u32_f32_e32 v4, v4
	v_mul_lo_u32 v5, s0, v4
	v_mul_hi_u32 v5, v4, v5
	v_add_u32_e32 v4, v4, v5
	v_mul_hi_u32 v4, v2, v4
	v_mul_lo_u32 v5, v4, s34
	v_add_u32_e32 v6, 1, v4
	v_sub_u32_e32 v5, v2, v5
	v_subrev_u32_e32 v7, s34, v5
	v_cmp_le_u32_e32 vcc, s34, v5
	v_cndmask_b32_e32 v5, v5, v7, vcc
	v_cndmask_b32_e32 v4, v4, v6, vcc
	v_add_u32_e32 v6, 1, v4
	v_cmp_le_u32_e32 vcc, s34, v5
	v_cndmask_b32_e32 v4, v4, v6, vcc
	v_mov_b32_e32 v5, 0
.LBB1_6:
	v_mul_lo_u32 v9, v5, s34
	v_mul_lo_u32 v10, v4, s11
	v_mad_u64_u32 v[5:6], s[0:1], v4, s34, 0
	v_mul_lo_u32 v7, v2, s12
	v_add3_u32 v6, v6, v10, v9
	v_sub_co_u32_e32 v5, vcc, v2, v5
	v_sub_u32_e32 v7, v8, v7
	v_subb_co_u32_e32 v6, vcc, 0, v6, vcc
.LBB1_7:
	s_lshr_b32 s0, s10, 16
	s_mul_i32 s7, s7, s0
	v_add_u32_e32 v9, s7, v1
	v_mov_b32_e32 v10, 0
	s_ashr_i32 s37, s18, 31
	s_mov_b32 s36, s18
	v_cmp_gt_i64_e32 vcc, s[36:37], v[9:10]
	s_xor_b64 s[40:41], s[2:3], -1
	s_and_saveexec_b64 s[0:1], vcc
	s_cbranch_execz .LBB1_32
; %bb.8:
	s_and_b32 s0, s10, 0xffff
	s_mul_i32 s6, s6, s0
	v_add_u32_e32 v0, s6, v0
	v_mov_b32_e32 v1, v10
	s_ashr_i32 s39, s19, 31
	s_mov_b32 s38, s19
	v_cmp_gt_i64_e32 vcc, s[38:39], v[0:1]
	s_and_b64 exec, exec, vcc
	s_cbranch_execz .LBB1_32
; %bb.9:
	s_ashr_i32 s35, s17, 31
	v_cmp_gt_i64_e32 vcc, s[34:35], v[5:6]
	v_cmp_gt_i32_e64 s[0:1], s12, v7
	s_and_b64 s[0:1], s[0:1], vcc
	v_cmp_gt_i32_e32 vcc, s16, v4
	s_and_b64 s[0:1], s[0:1], vcc
	s_and_b64 exec, exec, s[0:1]
	s_cbranch_execz .LBB1_32
; %bb.10:
	s_max_u32 s7, s29, 1
	v_cvt_f32_u32_e32 v8, s7
	s_sub_i32 s0, 0, s7
	v_mul_lo_u32 v13, s23, v5
	s_max_u32 s6, s30, 1
	v_rcp_iflag_f32_e32 v8, v8
	v_cvt_f32_u32_e32 v12, s6
	v_subrev_u32_e32 v21, s26, v13
	v_max_i32_e32 v11, 0, v21
	v_mul_f32_e32 v8, 0x4f7ffffe, v8
	v_cvt_u32_f32_e32 v8, v8
	v_add_u32_e32 v11, s26, v11
	v_rcp_iflag_f32_e32 v12, v12
	v_cmp_ne_u32_e32 vcc, v11, v13
	v_mul_lo_u32 v14, s0, v8
	s_max_u32 s18, s31, 1
	v_cndmask_b32_e64 v22, 0, 1, vcc
	v_add_u32_e32 v15, v13, v22
	v_mul_hi_u32 v14, v8, v14
	v_sub_u32_e32 v26, v11, v15
	v_mul_f32_e32 v11, 0x4f7ffffe, v12
	v_mul_lo_u32 v18, v9, s24
	v_add_u32_e32 v8, v8, v14
	v_cvt_f32_u32_e32 v14, s18
	v_cvt_u32_f32_e32 v11, v11
	s_sub_i32 s0, 0, s6
	v_subrev_u32_e32 v20, s27, v18
	v_rcp_iflag_f32_e32 v14, v14
	v_mul_lo_u32 v15, s0, v11
	v_max_i32_e32 v12, 0, v20
	v_add_u32_e32 v12, s27, v12
	v_mul_f32_e32 v14, 0x4f7ffffe, v14
	v_cvt_u32_f32_e32 v14, v14
	v_mul_lo_u32 v19, v0, s25
	v_cmp_ne_u32_e32 vcc, v12, v18
	v_cndmask_b32_e64 v23, 0, 1, vcc
	v_mul_hi_u32 v15, v11, v15
	v_add_u32_e32 v16, v18, v23
	s_sub_i32 s0, 0, s18
	v_sub_u32_e32 v28, v12, v16
	v_mul_lo_u32 v12, s0, v14
	v_subrev_u32_e32 v25, s28, v19
	v_add_u32_e32 v11, v11, v15
	v_max_i32_e32 v15, 0, v25
	v_add_u32_e32 v15, s28, v15
	v_mul_hi_u32 v12, v14, v12
	v_cmp_ne_u32_e32 vcc, v15, v19
	v_cndmask_b32_e64 v24, 0, 1, vcc
	v_add_u32_e32 v16, v19, v24
	v_sub_u32_e32 v27, v15, v16
	v_mad_u64_u32 v[16:17], s[0:1], v26, v8, 0
	v_add_u32_e32 v12, v14, v12
	s_load_dwordx4 s[8:11], s[4:5], 0x0
	v_mad_u64_u32 v[15:16], s[0:1], v28, v11, 0
	v_mad_u64_u32 v[14:15], s[0:1], v27, v12, 0
	s_andn2_b64 vcc, exec, s[40:41]
	s_cbranch_vccnz .LBB1_13
; %bb.11:
	s_ashr_i32 s0, s15, 31
	s_mul_i32 s16, s14, s13
	s_mul_hi_i32 s1, s14, s13
	s_mul_i32 s0, s16, s0
	s_mul_hi_u32 s17, s16, s15
	s_add_i32 s0, s17, s0
	s_mul_i32 s1, s1, s15
	s_add_i32 s0, s0, s1
	s_mul_i32 s16, s16, s15
	v_mul_lo_u32 v8, s0, v2
	v_mul_lo_u32 v14, s16, v3
	v_mad_u64_u32 v[11:12], s[0:1], s16, v2, 0
	v_add3_u32 v12, v12, v14, v8
	v_lshlrev_b64 v[11:12], 2, v[11:12]
	s_waitcnt lgkmcnt(0)
	v_mov_b32_e32 v8, s9
	v_add_co_u32_e32 v11, vcc, s8, v11
	v_addc_co_u32_e32 v12, vcc, v8, v12, vcc
	s_load_dwordx2 s[16:17], s[4:5], 0x10
	v_ashrrev_i32_e32 v8, 31, v7
	s_cbranch_execz .LBB1_14
	s_branch .LBB1_15
.LBB1_12:
                                        ; implicit-def: $vgpr4_vgpr5
	s_branch .LBB1_5
.LBB1_13:
                                        ; implicit-def: $vgpr11_vgpr12
	s_load_dwordx2 s[16:17], s[4:5], 0x10
	v_ashrrev_i32_e32 v8, 31, v7
.LBB1_14:
	s_ashr_i32 s0, s14, 31
	s_mul_i32 s5, s13, s12
	s_mul_hi_i32 s4, s13, s12
	s_mul_i32 s0, s5, s0
	s_mul_hi_u32 s19, s5, s14
	s_add_i32 s0, s19, s0
	s_mul_i32 s4, s4, s14
	s_ashr_i32 s1, s15, 31
	s_add_i32 s0, s0, s4
	s_mul_i32 s4, s5, s14
	s_mul_i32 s1, s4, s1
	s_mul_hi_u32 s5, s4, s15
	s_add_i32 s1, s5, s1
	s_mul_i32 s0, s0, s15
	v_ashrrev_i32_e32 v11, 31, v4
	s_add_i32 s1, s1, s0
	s_mul_i32 s4, s4, s15
	v_mul_lo_u32 v14, s1, v4
	v_mul_lo_u32 v29, s4, v11
	v_mad_u64_u32 v[11:12], s[0:1], s4, v4, 0
	v_add3_u32 v12, v12, v29, v14
	v_lshlrev_b64 v[11:12], 2, v[11:12]
	s_waitcnt lgkmcnt(0)
	v_mov_b32_e32 v14, s9
	v_add_co_u32_e32 v29, vcc, s8, v11
	v_addc_co_u32_e32 v14, vcc, v14, v12, vcc
	v_lshlrev_b64 v[11:12], 2, v[7:8]
	v_add_co_u32_e32 v11, vcc, v29, v11
	v_addc_co_u32_e32 v12, vcc, v14, v12, vcc
.LBB1_15:
	v_mul_lo_u32 v14, v17, s7
	v_add_u32_e32 v29, 1, v17
	s_add_i32 s4, s20, -1
	v_sub_u32_e32 v14, v26, v14
	v_cmp_le_u32_e32 vcc, s7, v14
	v_subrev_u32_e32 v26, s7, v14
	v_cndmask_b32_e32 v17, v17, v29, vcc
	v_cndmask_b32_e32 v14, v14, v26, vcc
	v_add_u32_e32 v26, 1, v17
	v_cmp_le_u32_e32 vcc, s7, v14
	v_cndmask_b32_e32 v14, v17, v26, vcc
	v_mul_lo_u32 v17, v16, s6
	v_add_u32_e32 v14, v14, v22
	v_mad_u64_u32 v[13:14], s[0:1], s29, v14, v[13:14]
	v_sub_u32_e32 v14, v28, v17
	v_add_u32_e32 v17, 1, v16
	v_cmp_le_u32_e32 vcc, s6, v14
	v_cndmask_b32_e32 v16, v16, v17, vcc
	v_subrev_u32_e32 v17, s6, v14
	v_cndmask_b32_e32 v14, v14, v17, vcc
	v_mul_lo_u32 v22, v15, s18
	v_add_u32_e32 v17, 1, v16
	v_cmp_le_u32_e32 vcc, s6, v14
	v_cndmask_b32_e32 v14, v16, v17, vcc
	v_add_u32_e32 v14, v14, v23
	v_mul_lo_u32 v16, s30, v14
	v_sub_u32_e32 v14, v27, v22
	v_add_u32_e32 v17, 1, v15
	v_cmp_le_u32_e32 vcc, s18, v14
	v_cndmask_b32_e32 v15, v15, v17, vcc
	v_subrev_u32_e32 v17, s18, v14
	v_cndmask_b32_e32 v14, v14, v17, vcc
	v_add_u32_e32 v17, 1, v15
	v_cmp_le_u32_e32 vcc, s18, v14
	v_cndmask_b32_e32 v14, v15, v17, vcc
	v_add_u32_e32 v14, v14, v24
	v_mul_lo_u32 v17, s31, v14
	v_subrev_u32_e32 v22, s26, v13
	v_mul_lo_u32 v27, v22, s14
	v_add_u32_e32 v14, v16, v18
	v_add_u32_e32 v13, v17, v19
	v_subrev_u32_e32 v23, s27, v14
	v_subrev_u32_e32 v15, s28, v13
	v_add_u32_e32 v13, v23, v27
	v_mad_u64_u32 v[13:14], s[0:1], v13, s15, v[15:16]
	s_mul_i32 s0, s29, s4
	v_add3_u32 v14, s0, 1, v21
	v_min_i32_e32 v24, s13, v14
	v_ashrrev_i32_e32 v14, 31, v13
	v_cmp_lt_i32_e32 vcc, v22, v24
	v_mov_b32_e32 v21, 0xff800000
	s_waitcnt lgkmcnt(0)
	s_and_saveexec_b64 s[8:9], vcc
	s_cbranch_execz .LBB1_27
; %bb.16:
	v_add3_u32 v16, v27, v18, v16
	v_subrev_u32_e32 v16, s27, v16
	v_mul_lo_u32 v16, s15, v16
	s_add_i32 s0, s21, -1
	s_mul_i32 s0, s30, s0
	v_add3_u32 v20, s0, 1, v20
	s_add_i32 s0, s22, -1
	s_and_b64 s[2:3], exec, s[2:3]
	v_add3_u32 v16, v16, v19, v17
	s_cselect_b32 s33, s12, 1
	v_subrev_u32_e32 v27, s28, v16
	s_mul_i32 s0, s31, s0
	v_mul_lo_u32 v28, s33, v27
	v_add3_u32 v21, s0, 1, v25
	s_mul_i32 s13, s29, s15
	v_min_i32_e32 v25, s15, v21
	v_min_i32_e32 v26, s14, v20
	s_mul_i32 s13, s13, s14
	s_mul_i32 s27, s30, s15
	v_cmp_lt_i32_e32 vcc, v23, v26
	v_cmp_lt_i32_e64 s[0:1], v15, v25
	s_mul_i32 s26, s13, s33
	s_mul_i32 s28, s27, s33
	;; [unrolled: 1-line block ×3, first 2 shown]
	s_ashr_i32 s42, s31, 31
	s_mov_b32 s43, s31
	v_mov_b32_e32 v21, 0xff800000
	s_mov_b64 s[14:15], 0
	s_branch .LBB1_19
.LBB1_17:                               ;   in Loop: Header=BB1_19 Depth=1
	s_or_b64 exec, exec, s[20:21]
.LBB1_18:                               ;   in Loop: Header=BB1_19 Depth=1
	s_or_b64 exec, exec, s[18:19]
	v_add_u32_e32 v22, s29, v22
	v_cmp_ge_i32_e64 s[2:3], v22, v24
	v_add_u32_e32 v28, s26, v28
	s_or_b64 s[14:15], s[2:3], s[14:15]
	v_add_u32_e32 v27, s13, v27
	s_andn2_b64 exec, exec, s[14:15]
	s_cbranch_execz .LBB1_26
.LBB1_19:                               ; =>This Loop Header: Depth=1
                                        ;     Child Loop BB1_22 Depth 2
                                        ;       Child Loop BB1_24 Depth 3
	s_and_saveexec_b64 s[18:19], vcc
	s_cbranch_execz .LBB1_18
; %bb.20:                               ;   in Loop: Header=BB1_19 Depth=1
	s_mov_b64 s[20:21], 0
	v_mov_b32_e32 v16, v27
	v_mov_b32_e32 v29, v28
	;; [unrolled: 1-line block ×3, first 2 shown]
	s_branch .LBB1_22
.LBB1_21:                               ;   in Loop: Header=BB1_22 Depth=2
	s_or_b64 exec, exec, s[22:23]
	v_add_u32_e32 v30, s30, v30
	v_cmp_ge_i32_e64 s[2:3], v30, v26
	v_add_u32_e32 v29, s28, v29
	s_or_b64 s[20:21], s[2:3], s[20:21]
	v_add_u32_e32 v16, s27, v16
	s_andn2_b64 exec, exec, s[20:21]
	s_cbranch_execz .LBB1_17
.LBB1_22:                               ;   Parent Loop BB1_19 Depth=1
                                        ; =>  This Loop Header: Depth=2
                                        ;       Child Loop BB1_24 Depth 3
	v_ashrrev_i32_e32 v17, 31, v16
	s_and_saveexec_b64 s[22:23], s[0:1]
	s_cbranch_execz .LBB1_21
; %bb.23:                               ;   in Loop: Header=BB1_22 Depth=2
	v_mov_b32_e32 v18, v17
	s_mov_b64 s[24:25], 0
	v_mov_b32_e32 v17, v16
	v_mov_b32_e32 v19, v29
	;; [unrolled: 1-line block ×3, first 2 shown]
.LBB1_24:                               ;   Parent Loop BB1_19 Depth=1
                                        ;     Parent Loop BB1_22 Depth=2
                                        ; =>    This Inner Loop Header: Depth=3
	v_ashrrev_i32_e32 v20, 31, v19
	v_lshlrev_b64 v[32:33], 2, v[19:20]
	v_add_u32_e32 v31, s31, v31
	v_add_co_u32_e64 v32, s[2:3], v11, v32
	v_addc_co_u32_e64 v33, s[2:3], v12, v33, s[2:3]
	global_load_dword v20, v[32:33], off
	v_cmp_ge_i32_e64 s[2:3], v31, v25
	v_mov_b32_e32 v32, s42
	v_add_u32_e32 v19, s33, v19
	s_waitcnt vmcnt(0)
	v_cmp_lt_f32_e64 s[4:5], v21, v20
	v_cmp_u_f32_e64 s[6:7], v20, v20
	s_or_b64 s[4:5], s[4:5], s[6:7]
	v_cndmask_b32_e64 v13, v13, v17, s[4:5]
	s_or_b64 s[24:25], s[2:3], s[24:25]
	v_add_co_u32_e64 v17, s[2:3], s43, v17
	v_cndmask_b32_e64 v14, v14, v18, s[4:5]
	v_cndmask_b32_e64 v21, v21, v20, s[4:5]
	v_addc_co_u32_e64 v18, s[2:3], v18, v32, s[2:3]
	s_andn2_b64 exec, exec, s[24:25]
	s_cbranch_execnz .LBB1_24
; %bb.25:                               ;   in Loop: Header=BB1_22 Depth=2
	s_or_b64 exec, exec, s[24:25]
	s_branch .LBB1_21
.LBB1_26:
	s_or_b64 exec, exec, s[14:15]
.LBB1_27:
	s_or_b64 exec, exec, s[8:9]
	s_and_b64 vcc, exec, s[40:41]
	s_cbranch_vccz .LBB1_29
; %bb.28:
	v_mad_u64_u32 v[11:12], s[0:1], v2, s34, v[5:6]
	v_mul_lo_u32 v2, v2, s35
	v_mul_lo_u32 v3, v3, s34
	;; [unrolled: 1-line block ×3, first 2 shown]
	v_add3_u32 v12, v3, v12, v2
	v_mad_u64_u32 v[2:3], s[0:1], v11, s36, v[9:10]
	v_mul_lo_u32 v11, v12, s36
	v_mul_lo_u32 v12, v2, s39
	v_add3_u32 v11, v11, v3, v15
	v_mad_u64_u32 v[2:3], s[0:1], v2, s38, v[0:1]
	v_mul_lo_u32 v11, v11, s38
	v_add3_u32 v3, v11, v3, v12
	s_cbranch_execz .LBB1_30
	s_branch .LBB1_31
.LBB1_29:
                                        ; implicit-def: $vgpr2_vgpr3
.LBB1_30:
	v_mad_i64_i32 v[2:3], s[0:1], v4, s34, v[5:6]
	v_mul_lo_u32 v4, v2, s37
	v_mul_lo_u32 v5, v3, s36
	v_mad_u64_u32 v[2:3], s[0:1], v2, s36, v[9:10]
	v_add3_u32 v3, v5, v3, v4
	v_mul_lo_u32 v4, v2, s39
	v_mad_u64_u32 v[0:1], s[0:1], v2, s38, v[0:1]
	v_mul_lo_u32 v2, v3, s38
	s_ashr_i32 s0, s12, 31
	v_mul_lo_u32 v5, v0, s0
	v_add3_u32 v1, v2, v1, v4
	v_mul_lo_u32 v1, v1, s12
	v_mad_u64_u32 v[2:3], s[0:1], v0, s12, v[7:8]
	v_add3_u32 v3, v1, v3, v5
.LBB1_31:
	v_lshlrev_b64 v[0:1], 2, v[2:3]
	v_mov_b32_e32 v4, s11
	v_add_co_u32_e32 v0, vcc, s10, v0
	v_addc_co_u32_e32 v1, vcc, v4, v1, vcc
	global_store_dword v[0:1], v21, off
	v_lshlrev_b64 v[0:1], 3, v[2:3]
	v_mov_b32_e32 v2, s17
	v_add_co_u32_e32 v0, vcc, s16, v0
	v_addc_co_u32_e32 v1, vcc, v2, v1, vcc
	global_store_dwordx2 v[0:1], v[13:14], off
.LBB1_32:
	s_endpgm
	.section	.rodata,"a",@progbits
	.p2align	6, 0x0
	.amdhsa_kernel _ZN2at6native12_GLOBAL__N_140max_pool3d_with_indices_single_out_frameIfEEvPKT_PS3_Pliiiiiiiiiiiiiiiiiiiiib
		.amdhsa_group_segment_fixed_size 0
		.amdhsa_private_segment_fixed_size 0
		.amdhsa_kernarg_size 368
		.amdhsa_user_sgpr_count 6
		.amdhsa_user_sgpr_private_segment_buffer 1
		.amdhsa_user_sgpr_dispatch_ptr 0
		.amdhsa_user_sgpr_queue_ptr 0
		.amdhsa_user_sgpr_kernarg_segment_ptr 1
		.amdhsa_user_sgpr_dispatch_id 0
		.amdhsa_user_sgpr_flat_scratch_init 0
		.amdhsa_user_sgpr_private_segment_size 0
		.amdhsa_uses_dynamic_stack 0
		.amdhsa_system_sgpr_private_segment_wavefront_offset 0
		.amdhsa_system_sgpr_workgroup_id_x 1
		.amdhsa_system_sgpr_workgroup_id_y 1
		.amdhsa_system_sgpr_workgroup_id_z 1
		.amdhsa_system_sgpr_workgroup_info 0
		.amdhsa_system_vgpr_workitem_id 2
		.amdhsa_next_free_vgpr 34
		.amdhsa_next_free_sgpr 44
		.amdhsa_reserve_vcc 1
		.amdhsa_reserve_flat_scratch 0
		.amdhsa_float_round_mode_32 0
		.amdhsa_float_round_mode_16_64 0
		.amdhsa_float_denorm_mode_32 3
		.amdhsa_float_denorm_mode_16_64 3
		.amdhsa_dx10_clamp 1
		.amdhsa_ieee_mode 1
		.amdhsa_fp16_overflow 0
		.amdhsa_exception_fp_ieee_invalid_op 0
		.amdhsa_exception_fp_denorm_src 0
		.amdhsa_exception_fp_ieee_div_zero 0
		.amdhsa_exception_fp_ieee_overflow 0
		.amdhsa_exception_fp_ieee_underflow 0
		.amdhsa_exception_fp_ieee_inexact 0
		.amdhsa_exception_int_div_zero 0
	.end_amdhsa_kernel
	.section	.text._ZN2at6native12_GLOBAL__N_140max_pool3d_with_indices_single_out_frameIfEEvPKT_PS3_Pliiiiiiiiiiiiiiiiiiiiib,"axG",@progbits,_ZN2at6native12_GLOBAL__N_140max_pool3d_with_indices_single_out_frameIfEEvPKT_PS3_Pliiiiiiiiiiiiiiiiiiiiib,comdat
.Lfunc_end1:
	.size	_ZN2at6native12_GLOBAL__N_140max_pool3d_with_indices_single_out_frameIfEEvPKT_PS3_Pliiiiiiiiiiiiiiiiiiiiib, .Lfunc_end1-_ZN2at6native12_GLOBAL__N_140max_pool3d_with_indices_single_out_frameIfEEvPKT_PS3_Pliiiiiiiiiiiiiiiiiiiiib
                                        ; -- End function
	.set _ZN2at6native12_GLOBAL__N_140max_pool3d_with_indices_single_out_frameIfEEvPKT_PS3_Pliiiiiiiiiiiiiiiiiiiiib.num_vgpr, 34
	.set _ZN2at6native12_GLOBAL__N_140max_pool3d_with_indices_single_out_frameIfEEvPKT_PS3_Pliiiiiiiiiiiiiiiiiiiiib.num_agpr, 0
	.set _ZN2at6native12_GLOBAL__N_140max_pool3d_with_indices_single_out_frameIfEEvPKT_PS3_Pliiiiiiiiiiiiiiiiiiiiib.numbered_sgpr, 44
	.set _ZN2at6native12_GLOBAL__N_140max_pool3d_with_indices_single_out_frameIfEEvPKT_PS3_Pliiiiiiiiiiiiiiiiiiiiib.num_named_barrier, 0
	.set _ZN2at6native12_GLOBAL__N_140max_pool3d_with_indices_single_out_frameIfEEvPKT_PS3_Pliiiiiiiiiiiiiiiiiiiiib.private_seg_size, 0
	.set _ZN2at6native12_GLOBAL__N_140max_pool3d_with_indices_single_out_frameIfEEvPKT_PS3_Pliiiiiiiiiiiiiiiiiiiiib.uses_vcc, 1
	.set _ZN2at6native12_GLOBAL__N_140max_pool3d_with_indices_single_out_frameIfEEvPKT_PS3_Pliiiiiiiiiiiiiiiiiiiiib.uses_flat_scratch, 0
	.set _ZN2at6native12_GLOBAL__N_140max_pool3d_with_indices_single_out_frameIfEEvPKT_PS3_Pliiiiiiiiiiiiiiiiiiiiib.has_dyn_sized_stack, 0
	.set _ZN2at6native12_GLOBAL__N_140max_pool3d_with_indices_single_out_frameIfEEvPKT_PS3_Pliiiiiiiiiiiiiiiiiiiiib.has_recursion, 0
	.set _ZN2at6native12_GLOBAL__N_140max_pool3d_with_indices_single_out_frameIfEEvPKT_PS3_Pliiiiiiiiiiiiiiiiiiiiib.has_indirect_call, 0
	.section	.AMDGPU.csdata,"",@progbits
; Kernel info:
; codeLenInByte = 2752
; TotalNumSgprs: 48
; NumVgprs: 34
; ScratchSize: 0
; MemoryBound: 0
; FloatMode: 240
; IeeeMode: 1
; LDSByteSize: 0 bytes/workgroup (compile time only)
; SGPRBlocks: 5
; VGPRBlocks: 8
; NumSGPRsForWavesPerEU: 48
; NumVGPRsForWavesPerEU: 34
; Occupancy: 7
; WaveLimiterHint : 0
; COMPUTE_PGM_RSRC2:SCRATCH_EN: 0
; COMPUTE_PGM_RSRC2:USER_SGPR: 6
; COMPUTE_PGM_RSRC2:TRAP_HANDLER: 0
; COMPUTE_PGM_RSRC2:TGID_X_EN: 1
; COMPUTE_PGM_RSRC2:TGID_Y_EN: 1
; COMPUTE_PGM_RSRC2:TGID_Z_EN: 1
; COMPUTE_PGM_RSRC2:TIDIG_COMP_CNT: 2
	.section	.text._ZN2at6native12_GLOBAL__N_140max_pool3d_with_indices_single_out_frameIN3c104HalfEEEvPKT_PS5_Pliiiiiiiiiiiiiiiiiiiiib,"axG",@progbits,_ZN2at6native12_GLOBAL__N_140max_pool3d_with_indices_single_out_frameIN3c104HalfEEEvPKT_PS5_Pliiiiiiiiiiiiiiiiiiiiib,comdat
	.globl	_ZN2at6native12_GLOBAL__N_140max_pool3d_with_indices_single_out_frameIN3c104HalfEEEvPKT_PS5_Pliiiiiiiiiiiiiiiiiiiiib ; -- Begin function _ZN2at6native12_GLOBAL__N_140max_pool3d_with_indices_single_out_frameIN3c104HalfEEEvPKT_PS5_Pliiiiiiiiiiiiiiiiiiiiib
	.p2align	8
	.type	_ZN2at6native12_GLOBAL__N_140max_pool3d_with_indices_single_out_frameIN3c104HalfEEEvPKT_PS5_Pliiiiiiiiiiiiiiiiiiiiib,@function
_ZN2at6native12_GLOBAL__N_140max_pool3d_with_indices_single_out_frameIN3c104HalfEEEvPKT_PS5_Pliiiiiiiiiiiiiiiiiiiiib: ; @_ZN2at6native12_GLOBAL__N_140max_pool3d_with_indices_single_out_frameIN3c104HalfEEEvPKT_PS5_Pliiiiiiiiiiiiiiiiiiiiib
; %bb.0:
	s_load_dwordx16 s[12:27], s[4:5], 0x18
	s_load_dwordx2 s[36:37], s[4:5], 0x68
	s_load_dwordx2 s[10:11], s[4:5], 0x7c
	s_load_dwordx4 s[28:31], s[4:5], 0x58
	s_mov_b64 s[0:1], -1
                                        ; implicit-def: $vgpr5_vgpr6
	s_waitcnt lgkmcnt(0)
	s_mov_b32 s34, s17
	s_bitcmp1_b32 s37, 0
	s_cselect_b64 s[2:3], -1, 0
	s_and_b32 s9, s11, 0xffff
	s_mul_i32 s8, s8, s9
	s_add_i32 s8, s8, s36
	v_add_u32_e32 v8, s8, v2
	s_and_b64 vcc, exec, s[2:3]
                                        ; implicit-def: $vgpr2_vgpr3
	s_cbranch_vccnz .LBB2_2
; %bb.1:
	v_cvt_f32_u32_e32 v2, s17
	s_sub_i32 s0, 0, s17
	v_mov_b32_e32 v6, 0
	v_rcp_iflag_f32_e32 v2, v2
	v_mul_f32_e32 v2, 0x4f7ffffe, v2
	v_cvt_u32_f32_e32 v2, v2
	v_mul_lo_u32 v3, s0, v2
	s_mov_b64 s[0:1], 0
	v_mul_hi_u32 v3, v2, v3
	v_add_u32_e32 v2, v2, v3
	v_mul_hi_u32 v2, v8, v2
	v_mul_lo_u32 v3, v2, s17
	v_add_u32_e32 v4, 1, v2
	v_sub_u32_e32 v3, v8, v3
	v_cmp_le_u32_e32 vcc, s17, v3
	v_cndmask_b32_e32 v2, v2, v4, vcc
	v_subrev_u32_e32 v4, s17, v3
	v_cndmask_b32_e32 v3, v3, v4, vcc
	v_add_u32_e32 v4, 1, v2
	v_cmp_le_u32_e32 vcc, s17, v3
	v_cndmask_b32_e32 v2, v2, v4, vcc
	v_mul_lo_u32 v4, v2, s17
	v_mov_b32_e32 v3, v6
	v_sub_u32_e32 v5, v8, v4
.LBB2_2:
	v_mov_b32_e32 v4, 0
	s_andn2_b64 vcc, exec, s[0:1]
	v_mov_b32_e32 v7, 0
	s_cbranch_vccnz .LBB2_7
; %bb.3:
	v_cvt_f32_u32_e32 v2, s12
	s_sub_i32 s0, 0, s12
	s_ashr_i32 s11, s17, 31
	s_mov_b32 s1, s11
	v_rcp_iflag_f32_e32 v2, v2
	v_mul_f32_e32 v2, 0x4f7ffffe, v2
	v_cvt_u32_f32_e32 v2, v2
	v_mul_lo_u32 v3, s0, v2
	s_mov_b32 s0, 0
	s_cmp_lg_u64 s[0:1], 0
	v_mul_hi_u32 v3, v2, v3
	v_add_u32_e32 v2, v2, v3
	v_mul_hi_u32 v2, v8, v2
	v_mul_lo_u32 v3, v2, s12
	v_add_u32_e32 v4, 1, v2
	v_sub_u32_e32 v3, v8, v3
	v_cmp_le_u32_e32 vcc, s12, v3
	v_cndmask_b32_e32 v2, v2, v4, vcc
	v_subrev_u32_e32 v4, s12, v3
	v_cndmask_b32_e32 v3, v3, v4, vcc
	v_add_u32_e32 v4, 1, v2
	v_cmp_le_u32_e32 vcc, s12, v3
	v_cndmask_b32_e32 v2, v2, v4, vcc
	v_mov_b32_e32 v3, 0
	s_cbranch_scc0 .LBB2_12
; %bb.4:
	s_ashr_i32 s8, s11, 31
	s_add_u32 s0, s34, s8
	s_mov_b32 s9, s8
	s_addc_u32 s1, s11, s8
	s_xor_b64 s[36:37], s[0:1], s[8:9]
	v_cvt_f32_u32_e32 v4, s36
	v_cvt_f32_u32_e32 v5, s37
	s_sub_u32 s9, 0, s36
	s_subb_u32 s33, 0, s37
	v_add_co_u32_e32 v9, vcc, 0, v2
	v_madmk_f32 v4, v5, 0x4f800000, v4
	v_rcp_f32_e32 v4, v4
	v_mul_f32_e32 v4, 0x5f7ffffc, v4
	v_mul_f32_e32 v5, 0x2f800000, v4
	v_trunc_f32_e32 v5, v5
	v_madmk_f32 v4, v5, 0xcf800000, v4
	v_cvt_u32_f32_e32 v5, v5
	v_cvt_u32_f32_e32 v4, v4
	v_readfirstlane_b32 s35, v5
	v_readfirstlane_b32 s0, v4
	s_mul_i32 s1, s9, s35
	s_mul_hi_u32 s39, s9, s0
	s_mul_i32 s38, s33, s0
	s_add_i32 s1, s39, s1
	s_add_i32 s1, s1, s38
	s_mul_i32 s40, s9, s0
	s_mul_i32 s39, s0, s1
	s_mul_hi_u32 s41, s0, s40
	s_mul_hi_u32 s38, s0, s1
	s_add_u32 s39, s41, s39
	s_addc_u32 s38, 0, s38
	s_mul_hi_u32 s42, s35, s40
	s_mul_i32 s40, s35, s40
	s_add_u32 s39, s39, s40
	s_mul_hi_u32 s41, s35, s1
	s_addc_u32 s38, s38, s42
	s_addc_u32 s39, s41, 0
	s_mul_i32 s1, s35, s1
	s_add_u32 s1, s38, s1
	s_addc_u32 s38, 0, s39
	s_add_u32 s39, s0, s1
	s_cselect_b64 s[0:1], -1, 0
	s_cmp_lg_u64 s[0:1], 0
	s_addc_u32 s35, s35, s38
	s_mul_i32 s0, s9, s35
	s_mul_hi_u32 s1, s9, s39
	s_add_i32 s0, s1, s0
	s_mul_i32 s33, s33, s39
	s_add_i32 s0, s0, s33
	s_mul_i32 s9, s9, s39
	s_mul_hi_u32 s33, s35, s9
	s_mul_i32 s38, s35, s9
	s_mul_i32 s41, s39, s0
	s_mul_hi_u32 s9, s39, s9
	s_mul_hi_u32 s40, s39, s0
	s_add_u32 s9, s9, s41
	s_addc_u32 s40, 0, s40
	s_add_u32 s9, s9, s38
	s_mul_hi_u32 s1, s35, s0
	s_addc_u32 s9, s40, s33
	s_addc_u32 s1, s1, 0
	s_mul_i32 s0, s35, s0
	s_add_u32 s0, s9, s0
	s_addc_u32 s9, 0, s1
	s_add_u32 s33, s39, s0
	s_cselect_b64 s[0:1], -1, 0
	s_cmp_lg_u64 s[0:1], 0
	s_addc_u32 s9, s35, s9
	v_mad_u64_u32 v[4:5], s[0:1], v9, s9, 0
	v_mul_hi_u32 v6, v9, s33
	v_addc_co_u32_e64 v10, s[0:1], 0, 0, vcc
	v_add_co_u32_e32 v11, vcc, v6, v4
	v_addc_co_u32_e32 v12, vcc, 0, v5, vcc
	v_mad_u64_u32 v[4:5], s[0:1], v10, s33, 0
	v_mad_u64_u32 v[6:7], s[0:1], v10, s9, 0
	v_add_co_u32_e32 v4, vcc, v11, v4
	v_addc_co_u32_e32 v4, vcc, v12, v5, vcc
	v_addc_co_u32_e32 v5, vcc, 0, v7, vcc
	v_add_co_u32_e32 v6, vcc, v4, v6
	v_addc_co_u32_e32 v7, vcc, 0, v5, vcc
	v_mul_lo_u32 v11, s37, v6
	v_mul_lo_u32 v12, s36, v7
	v_mad_u64_u32 v[4:5], s[0:1], s36, v6, 0
	v_add3_u32 v5, v5, v12, v11
	v_sub_u32_e32 v11, v10, v5
	v_mov_b32_e32 v12, s37
	v_sub_co_u32_e32 v4, vcc, v9, v4
	v_subb_co_u32_e64 v9, s[0:1], v11, v12, vcc
	v_subrev_co_u32_e64 v11, s[0:1], s36, v4
	v_subbrev_co_u32_e64 v9, s[0:1], 0, v9, s[0:1]
	v_cmp_le_u32_e64 s[0:1], s37, v9
	v_cndmask_b32_e64 v12, 0, -1, s[0:1]
	v_cmp_le_u32_e64 s[0:1], s36, v11
	v_cndmask_b32_e64 v11, 0, -1, s[0:1]
	v_cmp_eq_u32_e64 s[0:1], s37, v9
	v_cndmask_b32_e64 v9, v12, v11, s[0:1]
	v_add_co_u32_e64 v11, s[0:1], 2, v6
	v_subb_co_u32_e32 v5, vcc, v10, v5, vcc
	v_addc_co_u32_e64 v12, s[0:1], 0, v7, s[0:1]
	v_cmp_le_u32_e32 vcc, s37, v5
	v_add_co_u32_e64 v13, s[0:1], 1, v6
	v_cndmask_b32_e64 v10, 0, -1, vcc
	v_cmp_le_u32_e32 vcc, s36, v4
	v_addc_co_u32_e64 v14, s[0:1], 0, v7, s[0:1]
	v_cndmask_b32_e64 v4, 0, -1, vcc
	v_cmp_eq_u32_e32 vcc, s37, v5
	v_cmp_ne_u32_e64 s[0:1], 0, v9
	v_cndmask_b32_e32 v4, v10, v4, vcc
	v_cndmask_b32_e64 v9, v14, v12, s[0:1]
	v_cmp_ne_u32_e32 vcc, 0, v4
	v_cndmask_b32_e64 v5, v13, v11, s[0:1]
	v_cndmask_b32_e32 v4, v7, v9, vcc
	v_cndmask_b32_e32 v5, v6, v5, vcc
	v_xor_b32_e32 v6, s8, v4
	v_xor_b32_e32 v4, s8, v5
	v_mov_b32_e32 v5, s8
	v_subrev_co_u32_e32 v4, vcc, s8, v4
	v_subb_co_u32_e32 v5, vcc, v6, v5, vcc
	s_cbranch_execnz .LBB2_6
.LBB2_5:
	v_cvt_f32_u32_e32 v4, s34
	s_sub_i32 s0, 0, s34
	v_rcp_iflag_f32_e32 v4, v4
	v_mul_f32_e32 v4, 0x4f7ffffe, v4
	v_cvt_u32_f32_e32 v4, v4
	v_mul_lo_u32 v5, s0, v4
	v_mul_hi_u32 v5, v4, v5
	v_add_u32_e32 v4, v4, v5
	v_mul_hi_u32 v4, v2, v4
	v_mul_lo_u32 v5, v4, s34
	v_add_u32_e32 v6, 1, v4
	v_sub_u32_e32 v5, v2, v5
	v_subrev_u32_e32 v7, s34, v5
	v_cmp_le_u32_e32 vcc, s34, v5
	v_cndmask_b32_e32 v5, v5, v7, vcc
	v_cndmask_b32_e32 v4, v4, v6, vcc
	v_add_u32_e32 v6, 1, v4
	v_cmp_le_u32_e32 vcc, s34, v5
	v_cndmask_b32_e32 v4, v4, v6, vcc
	v_mov_b32_e32 v5, 0
.LBB2_6:
	v_mul_lo_u32 v9, v5, s34
	v_mul_lo_u32 v10, v4, s11
	v_mad_u64_u32 v[5:6], s[0:1], v4, s34, 0
	v_mul_lo_u32 v7, v2, s12
	v_add3_u32 v6, v6, v10, v9
	v_sub_co_u32_e32 v5, vcc, v2, v5
	v_sub_u32_e32 v7, v8, v7
	v_subb_co_u32_e32 v6, vcc, 0, v6, vcc
.LBB2_7:
	s_lshr_b32 s0, s10, 16
	s_mul_i32 s7, s7, s0
	v_add_u32_e32 v9, s7, v1
	v_mov_b32_e32 v10, 0
	s_ashr_i32 s37, s18, 31
	s_mov_b32 s36, s18
	v_cmp_gt_i64_e32 vcc, s[36:37], v[9:10]
	s_xor_b64 s[40:41], s[2:3], -1
	s_and_saveexec_b64 s[0:1], vcc
	s_cbranch_execz .LBB2_32
; %bb.8:
	s_and_b32 s0, s10, 0xffff
	s_mul_i32 s6, s6, s0
	v_add_u32_e32 v0, s6, v0
	v_mov_b32_e32 v1, v10
	s_ashr_i32 s39, s19, 31
	s_mov_b32 s38, s19
	v_cmp_gt_i64_e32 vcc, s[38:39], v[0:1]
	s_and_b64 exec, exec, vcc
	s_cbranch_execz .LBB2_32
; %bb.9:
	s_ashr_i32 s35, s17, 31
	v_cmp_gt_i64_e32 vcc, s[34:35], v[5:6]
	v_cmp_gt_i32_e64 s[0:1], s12, v7
	s_and_b64 s[0:1], s[0:1], vcc
	v_cmp_gt_i32_e32 vcc, s16, v4
	s_and_b64 s[0:1], s[0:1], vcc
	s_and_b64 exec, exec, s[0:1]
	s_cbranch_execz .LBB2_32
; %bb.10:
	s_max_u32 s7, s29, 1
	v_cvt_f32_u32_e32 v8, s7
	s_sub_i32 s0, 0, s7
	v_mul_lo_u32 v13, s23, v5
	s_max_u32 s6, s30, 1
	v_rcp_iflag_f32_e32 v8, v8
	v_cvt_f32_u32_e32 v12, s6
	v_subrev_u32_e32 v21, s26, v13
	v_max_i32_e32 v11, 0, v21
	v_mul_f32_e32 v8, 0x4f7ffffe, v8
	v_cvt_u32_f32_e32 v8, v8
	v_add_u32_e32 v11, s26, v11
	v_rcp_iflag_f32_e32 v12, v12
	v_cmp_ne_u32_e32 vcc, v11, v13
	v_mul_lo_u32 v14, s0, v8
	s_max_u32 s18, s31, 1
	v_cndmask_b32_e64 v22, 0, 1, vcc
	v_add_u32_e32 v15, v13, v22
	v_mul_hi_u32 v14, v8, v14
	v_sub_u32_e32 v26, v11, v15
	v_mul_f32_e32 v11, 0x4f7ffffe, v12
	v_mul_lo_u32 v18, v9, s24
	v_add_u32_e32 v8, v8, v14
	v_cvt_f32_u32_e32 v14, s18
	v_cvt_u32_f32_e32 v11, v11
	s_sub_i32 s0, 0, s6
	v_subrev_u32_e32 v20, s27, v18
	v_rcp_iflag_f32_e32 v14, v14
	v_mul_lo_u32 v15, s0, v11
	v_max_i32_e32 v12, 0, v20
	v_add_u32_e32 v12, s27, v12
	v_mul_f32_e32 v14, 0x4f7ffffe, v14
	v_cvt_u32_f32_e32 v14, v14
	v_mul_lo_u32 v19, v0, s25
	v_cmp_ne_u32_e32 vcc, v12, v18
	v_cndmask_b32_e64 v23, 0, 1, vcc
	v_mul_hi_u32 v15, v11, v15
	v_add_u32_e32 v16, v18, v23
	s_sub_i32 s0, 0, s18
	v_sub_u32_e32 v28, v12, v16
	v_mul_lo_u32 v12, s0, v14
	v_subrev_u32_e32 v25, s28, v19
	v_add_u32_e32 v11, v11, v15
	v_max_i32_e32 v15, 0, v25
	v_add_u32_e32 v15, s28, v15
	v_mul_hi_u32 v12, v14, v12
	v_cmp_ne_u32_e32 vcc, v15, v19
	v_cndmask_b32_e64 v24, 0, 1, vcc
	v_add_u32_e32 v16, v19, v24
	v_sub_u32_e32 v27, v15, v16
	v_mad_u64_u32 v[16:17], s[0:1], v26, v8, 0
	v_add_u32_e32 v12, v14, v12
	s_load_dwordx4 s[8:11], s[4:5], 0x0
	v_mad_u64_u32 v[15:16], s[0:1], v28, v11, 0
	v_mad_u64_u32 v[14:15], s[0:1], v27, v12, 0
	s_andn2_b64 vcc, exec, s[40:41]
	s_cbranch_vccnz .LBB2_13
; %bb.11:
	s_ashr_i32 s0, s15, 31
	s_mul_i32 s16, s14, s13
	s_mul_hi_i32 s1, s14, s13
	s_mul_i32 s0, s16, s0
	s_mul_hi_u32 s17, s16, s15
	s_add_i32 s0, s17, s0
	s_mul_i32 s1, s1, s15
	s_add_i32 s0, s0, s1
	s_mul_i32 s16, s16, s15
	v_mul_lo_u32 v8, s0, v2
	v_mul_lo_u32 v14, s16, v3
	v_mad_u64_u32 v[11:12], s[0:1], s16, v2, 0
	v_add3_u32 v12, v12, v14, v8
	v_lshlrev_b64 v[11:12], 1, v[11:12]
	s_waitcnt lgkmcnt(0)
	v_mov_b32_e32 v8, s9
	v_add_co_u32_e32 v11, vcc, s8, v11
	v_addc_co_u32_e32 v12, vcc, v8, v12, vcc
	s_load_dwordx2 s[16:17], s[4:5], 0x10
	v_ashrrev_i32_e32 v8, 31, v7
	s_cbranch_execz .LBB2_14
	s_branch .LBB2_15
.LBB2_12:
                                        ; implicit-def: $vgpr4_vgpr5
	s_branch .LBB2_5
.LBB2_13:
                                        ; implicit-def: $vgpr11_vgpr12
	s_load_dwordx2 s[16:17], s[4:5], 0x10
	v_ashrrev_i32_e32 v8, 31, v7
.LBB2_14:
	s_ashr_i32 s0, s14, 31
	s_mul_i32 s5, s13, s12
	s_mul_hi_i32 s4, s13, s12
	s_mul_i32 s0, s5, s0
	s_mul_hi_u32 s19, s5, s14
	s_add_i32 s0, s19, s0
	s_mul_i32 s4, s4, s14
	s_ashr_i32 s1, s15, 31
	s_add_i32 s0, s0, s4
	s_mul_i32 s4, s5, s14
	s_mul_i32 s1, s4, s1
	s_mul_hi_u32 s5, s4, s15
	s_add_i32 s1, s5, s1
	s_mul_i32 s0, s0, s15
	v_ashrrev_i32_e32 v11, 31, v4
	s_add_i32 s1, s1, s0
	s_mul_i32 s4, s4, s15
	v_mul_lo_u32 v14, s1, v4
	v_mul_lo_u32 v29, s4, v11
	v_mad_u64_u32 v[11:12], s[0:1], s4, v4, 0
	v_add3_u32 v12, v12, v29, v14
	v_lshlrev_b64 v[11:12], 1, v[11:12]
	s_waitcnt lgkmcnt(0)
	v_mov_b32_e32 v14, s9
	v_add_co_u32_e32 v29, vcc, s8, v11
	v_addc_co_u32_e32 v14, vcc, v14, v12, vcc
	v_lshlrev_b64 v[11:12], 1, v[7:8]
	v_add_co_u32_e32 v11, vcc, v29, v11
	v_addc_co_u32_e32 v12, vcc, v14, v12, vcc
.LBB2_15:
	v_mul_lo_u32 v14, v17, s7
	v_add_u32_e32 v29, 1, v17
	s_add_i32 s4, s20, -1
	v_sub_u32_e32 v14, v26, v14
	v_cmp_le_u32_e32 vcc, s7, v14
	v_subrev_u32_e32 v26, s7, v14
	v_cndmask_b32_e32 v17, v17, v29, vcc
	v_cndmask_b32_e32 v14, v14, v26, vcc
	v_add_u32_e32 v26, 1, v17
	v_cmp_le_u32_e32 vcc, s7, v14
	v_cndmask_b32_e32 v14, v17, v26, vcc
	v_mul_lo_u32 v17, v16, s6
	v_add_u32_e32 v14, v14, v22
	v_mad_u64_u32 v[13:14], s[0:1], s29, v14, v[13:14]
	v_sub_u32_e32 v14, v28, v17
	v_add_u32_e32 v17, 1, v16
	v_cmp_le_u32_e32 vcc, s6, v14
	v_cndmask_b32_e32 v16, v16, v17, vcc
	v_subrev_u32_e32 v17, s6, v14
	v_cndmask_b32_e32 v14, v14, v17, vcc
	v_mul_lo_u32 v22, v15, s18
	v_add_u32_e32 v17, 1, v16
	v_cmp_le_u32_e32 vcc, s6, v14
	v_cndmask_b32_e32 v14, v16, v17, vcc
	v_add_u32_e32 v14, v14, v23
	v_mul_lo_u32 v16, s30, v14
	v_sub_u32_e32 v14, v27, v22
	v_add_u32_e32 v17, 1, v15
	v_cmp_le_u32_e32 vcc, s18, v14
	v_cndmask_b32_e32 v15, v15, v17, vcc
	v_subrev_u32_e32 v17, s18, v14
	v_cndmask_b32_e32 v14, v14, v17, vcc
	v_add_u32_e32 v17, 1, v15
	v_cmp_le_u32_e32 vcc, s18, v14
	v_cndmask_b32_e32 v14, v15, v17, vcc
	v_add_u32_e32 v14, v14, v24
	v_mul_lo_u32 v17, s31, v14
	v_subrev_u32_e32 v22, s26, v13
	v_mul_lo_u32 v27, v22, s14
	v_add_u32_e32 v14, v16, v18
	v_add_u32_e32 v13, v17, v19
	v_subrev_u32_e32 v23, s27, v14
	v_subrev_u32_e32 v15, s28, v13
	v_add_u32_e32 v13, v23, v27
	v_mad_u64_u32 v[13:14], s[0:1], v13, s15, v[15:16]
	s_mul_i32 s0, s29, s4
	v_add3_u32 v14, s0, 1, v21
	v_min_i32_e32 v24, s13, v14
	v_ashrrev_i32_e32 v14, 31, v13
	v_cmp_lt_i32_e32 vcc, v22, v24
	v_mov_b32_e32 v21, 0xfffffc00
	s_waitcnt lgkmcnt(0)
	s_and_saveexec_b64 s[8:9], vcc
	s_cbranch_execz .LBB2_27
; %bb.16:
	v_add3_u32 v16, v27, v18, v16
	v_subrev_u32_e32 v16, s27, v16
	v_mul_lo_u32 v16, s15, v16
	s_add_i32 s0, s21, -1
	s_mul_i32 s0, s30, s0
	v_add3_u32 v20, s0, 1, v20
	s_add_i32 s0, s22, -1
	s_and_b64 s[2:3], exec, s[2:3]
	v_add3_u32 v16, v16, v19, v17
	s_cselect_b32 s33, s12, 1
	v_subrev_u32_e32 v27, s28, v16
	s_mul_i32 s0, s31, s0
	v_mul_lo_u32 v28, s33, v27
	v_add3_u32 v21, s0, 1, v25
	s_mul_i32 s13, s29, s15
	v_min_i32_e32 v25, s15, v21
	v_min_i32_e32 v26, s14, v20
	s_mul_i32 s13, s13, s14
	s_mul_i32 s27, s30, s15
	v_cmp_lt_i32_e32 vcc, v23, v26
	v_cmp_lt_i32_e64 s[0:1], v15, v25
	s_mul_i32 s26, s13, s33
	s_mul_i32 s28, s27, s33
	;; [unrolled: 1-line block ×3, first 2 shown]
	s_ashr_i32 s42, s31, 31
	s_mov_b32 s43, s31
	v_mov_b32_e32 v21, 0xfffffc00
	s_mov_b64 s[14:15], 0
	s_branch .LBB2_19
.LBB2_17:                               ;   in Loop: Header=BB2_19 Depth=1
	s_or_b64 exec, exec, s[20:21]
.LBB2_18:                               ;   in Loop: Header=BB2_19 Depth=1
	s_or_b64 exec, exec, s[18:19]
	v_add_u32_e32 v22, s29, v22
	v_cmp_ge_i32_e64 s[2:3], v22, v24
	v_add_u32_e32 v28, s26, v28
	s_or_b64 s[14:15], s[2:3], s[14:15]
	v_add_u32_e32 v27, s13, v27
	s_andn2_b64 exec, exec, s[14:15]
	s_cbranch_execz .LBB2_26
.LBB2_19:                               ; =>This Loop Header: Depth=1
                                        ;     Child Loop BB2_22 Depth 2
                                        ;       Child Loop BB2_24 Depth 3
	s_and_saveexec_b64 s[18:19], vcc
	s_cbranch_execz .LBB2_18
; %bb.20:                               ;   in Loop: Header=BB2_19 Depth=1
	s_mov_b64 s[20:21], 0
	v_mov_b32_e32 v16, v27
	v_mov_b32_e32 v29, v28
	;; [unrolled: 1-line block ×3, first 2 shown]
	s_branch .LBB2_22
.LBB2_21:                               ;   in Loop: Header=BB2_22 Depth=2
	s_or_b64 exec, exec, s[22:23]
	v_add_u32_e32 v30, s30, v30
	v_cmp_ge_i32_e64 s[2:3], v30, v26
	v_add_u32_e32 v29, s28, v29
	s_or_b64 s[20:21], s[2:3], s[20:21]
	v_add_u32_e32 v16, s27, v16
	s_andn2_b64 exec, exec, s[20:21]
	s_cbranch_execz .LBB2_17
.LBB2_22:                               ;   Parent Loop BB2_19 Depth=1
                                        ; =>  This Loop Header: Depth=2
                                        ;       Child Loop BB2_24 Depth 3
	v_ashrrev_i32_e32 v17, 31, v16
	s_and_saveexec_b64 s[22:23], s[0:1]
	s_cbranch_execz .LBB2_21
; %bb.23:                               ;   in Loop: Header=BB2_22 Depth=2
	v_mov_b32_e32 v18, v17
	s_mov_b64 s[24:25], 0
	v_mov_b32_e32 v17, v16
	v_mov_b32_e32 v19, v29
	;; [unrolled: 1-line block ×3, first 2 shown]
.LBB2_24:                               ;   Parent Loop BB2_19 Depth=1
                                        ;     Parent Loop BB2_22 Depth=2
                                        ; =>    This Inner Loop Header: Depth=3
	v_ashrrev_i32_e32 v20, 31, v19
	v_lshlrev_b64 v[32:33], 1, v[19:20]
	v_add_u32_e32 v31, s31, v31
	v_add_co_u32_e64 v32, s[2:3], v11, v32
	v_addc_co_u32_e64 v33, s[2:3], v12, v33, s[2:3]
	global_load_ushort v20, v[32:33], off
	v_cmp_ge_i32_e64 s[2:3], v31, v25
	v_mov_b32_e32 v32, s42
	v_add_u32_e32 v19, s33, v19
	s_waitcnt vmcnt(0)
	v_cmp_lt_f16_e64 s[4:5], v21, v20
	v_cmp_u_f16_e64 s[6:7], v20, v20
	s_or_b64 s[4:5], s[4:5], s[6:7]
	v_cndmask_b32_e64 v13, v13, v17, s[4:5]
	s_or_b64 s[24:25], s[2:3], s[24:25]
	v_add_co_u32_e64 v17, s[2:3], s43, v17
	v_cndmask_b32_e64 v21, v21, v20, s[4:5]
	v_cndmask_b32_e64 v14, v14, v18, s[4:5]
	v_addc_co_u32_e64 v18, s[2:3], v18, v32, s[2:3]
	s_andn2_b64 exec, exec, s[24:25]
	s_cbranch_execnz .LBB2_24
; %bb.25:                               ;   in Loop: Header=BB2_22 Depth=2
	s_or_b64 exec, exec, s[24:25]
	s_branch .LBB2_21
.LBB2_26:
	s_or_b64 exec, exec, s[14:15]
.LBB2_27:
	s_or_b64 exec, exec, s[8:9]
	s_and_b64 vcc, exec, s[40:41]
	s_cbranch_vccz .LBB2_29
; %bb.28:
	v_mad_u64_u32 v[11:12], s[0:1], v2, s34, v[5:6]
	v_mul_lo_u32 v2, v2, s35
	v_mul_lo_u32 v3, v3, s34
	;; [unrolled: 1-line block ×3, first 2 shown]
	v_add3_u32 v12, v3, v12, v2
	v_mad_u64_u32 v[2:3], s[0:1], v11, s36, v[9:10]
	v_mul_lo_u32 v11, v12, s36
	v_mul_lo_u32 v12, v2, s39
	v_add3_u32 v11, v11, v3, v15
	v_mad_u64_u32 v[2:3], s[0:1], v2, s38, v[0:1]
	v_mul_lo_u32 v11, v11, s38
	v_add3_u32 v3, v11, v3, v12
	s_cbranch_execz .LBB2_30
	s_branch .LBB2_31
.LBB2_29:
                                        ; implicit-def: $vgpr2_vgpr3
.LBB2_30:
	v_mad_i64_i32 v[2:3], s[0:1], v4, s34, v[5:6]
	v_mul_lo_u32 v4, v2, s37
	v_mul_lo_u32 v5, v3, s36
	v_mad_u64_u32 v[2:3], s[0:1], v2, s36, v[9:10]
	v_add3_u32 v3, v5, v3, v4
	v_mul_lo_u32 v4, v2, s39
	v_mad_u64_u32 v[0:1], s[0:1], v2, s38, v[0:1]
	v_mul_lo_u32 v2, v3, s38
	s_ashr_i32 s0, s12, 31
	v_mul_lo_u32 v5, v0, s0
	v_add3_u32 v1, v2, v1, v4
	v_mul_lo_u32 v1, v1, s12
	v_mad_u64_u32 v[2:3], s[0:1], v0, s12, v[7:8]
	v_add3_u32 v3, v1, v3, v5
.LBB2_31:
	v_lshlrev_b64 v[0:1], 1, v[2:3]
	v_mov_b32_e32 v4, s11
	v_add_co_u32_e32 v0, vcc, s10, v0
	v_addc_co_u32_e32 v1, vcc, v4, v1, vcc
	global_store_short v[0:1], v21, off
	v_lshlrev_b64 v[0:1], 3, v[2:3]
	v_mov_b32_e32 v2, s17
	v_add_co_u32_e32 v0, vcc, s16, v0
	v_addc_co_u32_e32 v1, vcc, v2, v1, vcc
	global_store_dwordx2 v[0:1], v[13:14], off
.LBB2_32:
	s_endpgm
	.section	.rodata,"a",@progbits
	.p2align	6, 0x0
	.amdhsa_kernel _ZN2at6native12_GLOBAL__N_140max_pool3d_with_indices_single_out_frameIN3c104HalfEEEvPKT_PS5_Pliiiiiiiiiiiiiiiiiiiiib
		.amdhsa_group_segment_fixed_size 0
		.amdhsa_private_segment_fixed_size 0
		.amdhsa_kernarg_size 368
		.amdhsa_user_sgpr_count 6
		.amdhsa_user_sgpr_private_segment_buffer 1
		.amdhsa_user_sgpr_dispatch_ptr 0
		.amdhsa_user_sgpr_queue_ptr 0
		.amdhsa_user_sgpr_kernarg_segment_ptr 1
		.amdhsa_user_sgpr_dispatch_id 0
		.amdhsa_user_sgpr_flat_scratch_init 0
		.amdhsa_user_sgpr_private_segment_size 0
		.amdhsa_uses_dynamic_stack 0
		.amdhsa_system_sgpr_private_segment_wavefront_offset 0
		.amdhsa_system_sgpr_workgroup_id_x 1
		.amdhsa_system_sgpr_workgroup_id_y 1
		.amdhsa_system_sgpr_workgroup_id_z 1
		.amdhsa_system_sgpr_workgroup_info 0
		.amdhsa_system_vgpr_workitem_id 2
		.amdhsa_next_free_vgpr 34
		.amdhsa_next_free_sgpr 44
		.amdhsa_reserve_vcc 1
		.amdhsa_reserve_flat_scratch 0
		.amdhsa_float_round_mode_32 0
		.amdhsa_float_round_mode_16_64 0
		.amdhsa_float_denorm_mode_32 3
		.amdhsa_float_denorm_mode_16_64 3
		.amdhsa_dx10_clamp 1
		.amdhsa_ieee_mode 1
		.amdhsa_fp16_overflow 0
		.amdhsa_exception_fp_ieee_invalid_op 0
		.amdhsa_exception_fp_denorm_src 0
		.amdhsa_exception_fp_ieee_div_zero 0
		.amdhsa_exception_fp_ieee_overflow 0
		.amdhsa_exception_fp_ieee_underflow 0
		.amdhsa_exception_fp_ieee_inexact 0
		.amdhsa_exception_int_div_zero 0
	.end_amdhsa_kernel
	.section	.text._ZN2at6native12_GLOBAL__N_140max_pool3d_with_indices_single_out_frameIN3c104HalfEEEvPKT_PS5_Pliiiiiiiiiiiiiiiiiiiiib,"axG",@progbits,_ZN2at6native12_GLOBAL__N_140max_pool3d_with_indices_single_out_frameIN3c104HalfEEEvPKT_PS5_Pliiiiiiiiiiiiiiiiiiiiib,comdat
.Lfunc_end2:
	.size	_ZN2at6native12_GLOBAL__N_140max_pool3d_with_indices_single_out_frameIN3c104HalfEEEvPKT_PS5_Pliiiiiiiiiiiiiiiiiiiiib, .Lfunc_end2-_ZN2at6native12_GLOBAL__N_140max_pool3d_with_indices_single_out_frameIN3c104HalfEEEvPKT_PS5_Pliiiiiiiiiiiiiiiiiiiiib
                                        ; -- End function
	.set _ZN2at6native12_GLOBAL__N_140max_pool3d_with_indices_single_out_frameIN3c104HalfEEEvPKT_PS5_Pliiiiiiiiiiiiiiiiiiiiib.num_vgpr, 34
	.set _ZN2at6native12_GLOBAL__N_140max_pool3d_with_indices_single_out_frameIN3c104HalfEEEvPKT_PS5_Pliiiiiiiiiiiiiiiiiiiiib.num_agpr, 0
	.set _ZN2at6native12_GLOBAL__N_140max_pool3d_with_indices_single_out_frameIN3c104HalfEEEvPKT_PS5_Pliiiiiiiiiiiiiiiiiiiiib.numbered_sgpr, 44
	.set _ZN2at6native12_GLOBAL__N_140max_pool3d_with_indices_single_out_frameIN3c104HalfEEEvPKT_PS5_Pliiiiiiiiiiiiiiiiiiiiib.num_named_barrier, 0
	.set _ZN2at6native12_GLOBAL__N_140max_pool3d_with_indices_single_out_frameIN3c104HalfEEEvPKT_PS5_Pliiiiiiiiiiiiiiiiiiiiib.private_seg_size, 0
	.set _ZN2at6native12_GLOBAL__N_140max_pool3d_with_indices_single_out_frameIN3c104HalfEEEvPKT_PS5_Pliiiiiiiiiiiiiiiiiiiiib.uses_vcc, 1
	.set _ZN2at6native12_GLOBAL__N_140max_pool3d_with_indices_single_out_frameIN3c104HalfEEEvPKT_PS5_Pliiiiiiiiiiiiiiiiiiiiib.uses_flat_scratch, 0
	.set _ZN2at6native12_GLOBAL__N_140max_pool3d_with_indices_single_out_frameIN3c104HalfEEEvPKT_PS5_Pliiiiiiiiiiiiiiiiiiiiib.has_dyn_sized_stack, 0
	.set _ZN2at6native12_GLOBAL__N_140max_pool3d_with_indices_single_out_frameIN3c104HalfEEEvPKT_PS5_Pliiiiiiiiiiiiiiiiiiiiib.has_recursion, 0
	.set _ZN2at6native12_GLOBAL__N_140max_pool3d_with_indices_single_out_frameIN3c104HalfEEEvPKT_PS5_Pliiiiiiiiiiiiiiiiiiiiib.has_indirect_call, 0
	.section	.AMDGPU.csdata,"",@progbits
; Kernel info:
; codeLenInByte = 2752
; TotalNumSgprs: 48
; NumVgprs: 34
; ScratchSize: 0
; MemoryBound: 0
; FloatMode: 240
; IeeeMode: 1
; LDSByteSize: 0 bytes/workgroup (compile time only)
; SGPRBlocks: 5
; VGPRBlocks: 8
; NumSGPRsForWavesPerEU: 48
; NumVGPRsForWavesPerEU: 34
; Occupancy: 7
; WaveLimiterHint : 0
; COMPUTE_PGM_RSRC2:SCRATCH_EN: 0
; COMPUTE_PGM_RSRC2:USER_SGPR: 6
; COMPUTE_PGM_RSRC2:TRAP_HANDLER: 0
; COMPUTE_PGM_RSRC2:TGID_X_EN: 1
; COMPUTE_PGM_RSRC2:TGID_Y_EN: 1
; COMPUTE_PGM_RSRC2:TGID_Z_EN: 1
; COMPUTE_PGM_RSRC2:TIDIG_COMP_CNT: 2
	.section	.text._ZN2at6native12_GLOBAL__N_140max_pool3d_with_indices_single_out_frameIN3c108BFloat16EEEvPKT_PS5_Pliiiiiiiiiiiiiiiiiiiiib,"axG",@progbits,_ZN2at6native12_GLOBAL__N_140max_pool3d_with_indices_single_out_frameIN3c108BFloat16EEEvPKT_PS5_Pliiiiiiiiiiiiiiiiiiiiib,comdat
	.globl	_ZN2at6native12_GLOBAL__N_140max_pool3d_with_indices_single_out_frameIN3c108BFloat16EEEvPKT_PS5_Pliiiiiiiiiiiiiiiiiiiiib ; -- Begin function _ZN2at6native12_GLOBAL__N_140max_pool3d_with_indices_single_out_frameIN3c108BFloat16EEEvPKT_PS5_Pliiiiiiiiiiiiiiiiiiiiib
	.p2align	8
	.type	_ZN2at6native12_GLOBAL__N_140max_pool3d_with_indices_single_out_frameIN3c108BFloat16EEEvPKT_PS5_Pliiiiiiiiiiiiiiiiiiiiib,@function
_ZN2at6native12_GLOBAL__N_140max_pool3d_with_indices_single_out_frameIN3c108BFloat16EEEvPKT_PS5_Pliiiiiiiiiiiiiiiiiiiiib: ; @_ZN2at6native12_GLOBAL__N_140max_pool3d_with_indices_single_out_frameIN3c108BFloat16EEEvPKT_PS5_Pliiiiiiiiiiiiiiiiiiiiib
; %bb.0:
	s_load_dwordx16 s[12:27], s[4:5], 0x18
	s_load_dwordx2 s[36:37], s[4:5], 0x68
	s_load_dwordx2 s[10:11], s[4:5], 0x7c
	s_load_dwordx4 s[28:31], s[4:5], 0x58
	s_mov_b64 s[0:1], -1
                                        ; implicit-def: $vgpr5_vgpr6
	s_waitcnt lgkmcnt(0)
	s_mov_b32 s34, s17
	s_bitcmp1_b32 s37, 0
	s_cselect_b64 s[2:3], -1, 0
	s_and_b32 s9, s11, 0xffff
	s_mul_i32 s8, s8, s9
	s_add_i32 s8, s8, s36
	v_add_u32_e32 v8, s8, v2
	s_and_b64 vcc, exec, s[2:3]
                                        ; implicit-def: $vgpr2_vgpr3
	s_cbranch_vccnz .LBB3_2
; %bb.1:
	v_cvt_f32_u32_e32 v2, s17
	s_sub_i32 s0, 0, s17
	v_mov_b32_e32 v6, 0
	v_rcp_iflag_f32_e32 v2, v2
	v_mul_f32_e32 v2, 0x4f7ffffe, v2
	v_cvt_u32_f32_e32 v2, v2
	v_mul_lo_u32 v3, s0, v2
	s_mov_b64 s[0:1], 0
	v_mul_hi_u32 v3, v2, v3
	v_add_u32_e32 v2, v2, v3
	v_mul_hi_u32 v2, v8, v2
	v_mul_lo_u32 v3, v2, s17
	v_add_u32_e32 v4, 1, v2
	v_sub_u32_e32 v3, v8, v3
	v_cmp_le_u32_e32 vcc, s17, v3
	v_cndmask_b32_e32 v2, v2, v4, vcc
	v_subrev_u32_e32 v4, s17, v3
	v_cndmask_b32_e32 v3, v3, v4, vcc
	v_add_u32_e32 v4, 1, v2
	v_cmp_le_u32_e32 vcc, s17, v3
	v_cndmask_b32_e32 v2, v2, v4, vcc
	v_mul_lo_u32 v4, v2, s17
	v_mov_b32_e32 v3, v6
	v_sub_u32_e32 v5, v8, v4
.LBB3_2:
	v_mov_b32_e32 v4, 0
	s_andn2_b64 vcc, exec, s[0:1]
	v_mov_b32_e32 v7, 0
	s_cbranch_vccnz .LBB3_7
; %bb.3:
	v_cvt_f32_u32_e32 v2, s12
	s_sub_i32 s0, 0, s12
	s_ashr_i32 s11, s17, 31
	s_mov_b32 s1, s11
	v_rcp_iflag_f32_e32 v2, v2
	v_mul_f32_e32 v2, 0x4f7ffffe, v2
	v_cvt_u32_f32_e32 v2, v2
	v_mul_lo_u32 v3, s0, v2
	s_mov_b32 s0, 0
	s_cmp_lg_u64 s[0:1], 0
	v_mul_hi_u32 v3, v2, v3
	v_add_u32_e32 v2, v2, v3
	v_mul_hi_u32 v2, v8, v2
	v_mul_lo_u32 v3, v2, s12
	v_add_u32_e32 v4, 1, v2
	v_sub_u32_e32 v3, v8, v3
	v_cmp_le_u32_e32 vcc, s12, v3
	v_cndmask_b32_e32 v2, v2, v4, vcc
	v_subrev_u32_e32 v4, s12, v3
	v_cndmask_b32_e32 v3, v3, v4, vcc
	v_add_u32_e32 v4, 1, v2
	v_cmp_le_u32_e32 vcc, s12, v3
	v_cndmask_b32_e32 v2, v2, v4, vcc
	v_mov_b32_e32 v3, 0
	s_cbranch_scc0 .LBB3_12
; %bb.4:
	s_ashr_i32 s8, s11, 31
	s_add_u32 s0, s34, s8
	s_mov_b32 s9, s8
	s_addc_u32 s1, s11, s8
	s_xor_b64 s[36:37], s[0:1], s[8:9]
	v_cvt_f32_u32_e32 v4, s36
	v_cvt_f32_u32_e32 v5, s37
	s_sub_u32 s9, 0, s36
	s_subb_u32 s33, 0, s37
	v_add_co_u32_e32 v9, vcc, 0, v2
	v_madmk_f32 v4, v5, 0x4f800000, v4
	v_rcp_f32_e32 v4, v4
	v_mul_f32_e32 v4, 0x5f7ffffc, v4
	v_mul_f32_e32 v5, 0x2f800000, v4
	v_trunc_f32_e32 v5, v5
	v_madmk_f32 v4, v5, 0xcf800000, v4
	v_cvt_u32_f32_e32 v5, v5
	v_cvt_u32_f32_e32 v4, v4
	v_readfirstlane_b32 s35, v5
	v_readfirstlane_b32 s0, v4
	s_mul_i32 s1, s9, s35
	s_mul_hi_u32 s39, s9, s0
	s_mul_i32 s38, s33, s0
	s_add_i32 s1, s39, s1
	s_add_i32 s1, s1, s38
	s_mul_i32 s40, s9, s0
	s_mul_i32 s39, s0, s1
	s_mul_hi_u32 s41, s0, s40
	s_mul_hi_u32 s38, s0, s1
	s_add_u32 s39, s41, s39
	s_addc_u32 s38, 0, s38
	s_mul_hi_u32 s42, s35, s40
	s_mul_i32 s40, s35, s40
	s_add_u32 s39, s39, s40
	s_mul_hi_u32 s41, s35, s1
	s_addc_u32 s38, s38, s42
	s_addc_u32 s39, s41, 0
	s_mul_i32 s1, s35, s1
	s_add_u32 s1, s38, s1
	s_addc_u32 s38, 0, s39
	s_add_u32 s39, s0, s1
	s_cselect_b64 s[0:1], -1, 0
	s_cmp_lg_u64 s[0:1], 0
	s_addc_u32 s35, s35, s38
	s_mul_i32 s0, s9, s35
	s_mul_hi_u32 s1, s9, s39
	s_add_i32 s0, s1, s0
	s_mul_i32 s33, s33, s39
	s_add_i32 s0, s0, s33
	s_mul_i32 s9, s9, s39
	s_mul_hi_u32 s33, s35, s9
	s_mul_i32 s38, s35, s9
	s_mul_i32 s41, s39, s0
	s_mul_hi_u32 s9, s39, s9
	s_mul_hi_u32 s40, s39, s0
	s_add_u32 s9, s9, s41
	s_addc_u32 s40, 0, s40
	s_add_u32 s9, s9, s38
	s_mul_hi_u32 s1, s35, s0
	s_addc_u32 s9, s40, s33
	s_addc_u32 s1, s1, 0
	s_mul_i32 s0, s35, s0
	s_add_u32 s0, s9, s0
	s_addc_u32 s9, 0, s1
	s_add_u32 s33, s39, s0
	s_cselect_b64 s[0:1], -1, 0
	s_cmp_lg_u64 s[0:1], 0
	s_addc_u32 s9, s35, s9
	v_mad_u64_u32 v[4:5], s[0:1], v9, s9, 0
	v_mul_hi_u32 v6, v9, s33
	v_addc_co_u32_e64 v10, s[0:1], 0, 0, vcc
	v_add_co_u32_e32 v11, vcc, v6, v4
	v_addc_co_u32_e32 v12, vcc, 0, v5, vcc
	v_mad_u64_u32 v[4:5], s[0:1], v10, s33, 0
	v_mad_u64_u32 v[6:7], s[0:1], v10, s9, 0
	v_add_co_u32_e32 v4, vcc, v11, v4
	v_addc_co_u32_e32 v4, vcc, v12, v5, vcc
	v_addc_co_u32_e32 v5, vcc, 0, v7, vcc
	v_add_co_u32_e32 v6, vcc, v4, v6
	v_addc_co_u32_e32 v7, vcc, 0, v5, vcc
	v_mul_lo_u32 v11, s37, v6
	v_mul_lo_u32 v12, s36, v7
	v_mad_u64_u32 v[4:5], s[0:1], s36, v6, 0
	v_add3_u32 v5, v5, v12, v11
	v_sub_u32_e32 v11, v10, v5
	v_mov_b32_e32 v12, s37
	v_sub_co_u32_e32 v4, vcc, v9, v4
	v_subb_co_u32_e64 v9, s[0:1], v11, v12, vcc
	v_subrev_co_u32_e64 v11, s[0:1], s36, v4
	v_subbrev_co_u32_e64 v9, s[0:1], 0, v9, s[0:1]
	v_cmp_le_u32_e64 s[0:1], s37, v9
	v_cndmask_b32_e64 v12, 0, -1, s[0:1]
	v_cmp_le_u32_e64 s[0:1], s36, v11
	v_cndmask_b32_e64 v11, 0, -1, s[0:1]
	v_cmp_eq_u32_e64 s[0:1], s37, v9
	v_cndmask_b32_e64 v9, v12, v11, s[0:1]
	v_add_co_u32_e64 v11, s[0:1], 2, v6
	v_subb_co_u32_e32 v5, vcc, v10, v5, vcc
	v_addc_co_u32_e64 v12, s[0:1], 0, v7, s[0:1]
	v_cmp_le_u32_e32 vcc, s37, v5
	v_add_co_u32_e64 v13, s[0:1], 1, v6
	v_cndmask_b32_e64 v10, 0, -1, vcc
	v_cmp_le_u32_e32 vcc, s36, v4
	v_addc_co_u32_e64 v14, s[0:1], 0, v7, s[0:1]
	v_cndmask_b32_e64 v4, 0, -1, vcc
	v_cmp_eq_u32_e32 vcc, s37, v5
	v_cmp_ne_u32_e64 s[0:1], 0, v9
	v_cndmask_b32_e32 v4, v10, v4, vcc
	v_cndmask_b32_e64 v9, v14, v12, s[0:1]
	v_cmp_ne_u32_e32 vcc, 0, v4
	v_cndmask_b32_e64 v5, v13, v11, s[0:1]
	v_cndmask_b32_e32 v4, v7, v9, vcc
	v_cndmask_b32_e32 v5, v6, v5, vcc
	v_xor_b32_e32 v6, s8, v4
	v_xor_b32_e32 v4, s8, v5
	v_mov_b32_e32 v5, s8
	v_subrev_co_u32_e32 v4, vcc, s8, v4
	v_subb_co_u32_e32 v5, vcc, v6, v5, vcc
	s_cbranch_execnz .LBB3_6
.LBB3_5:
	v_cvt_f32_u32_e32 v4, s34
	s_sub_i32 s0, 0, s34
	v_rcp_iflag_f32_e32 v4, v4
	v_mul_f32_e32 v4, 0x4f7ffffe, v4
	v_cvt_u32_f32_e32 v4, v4
	v_mul_lo_u32 v5, s0, v4
	v_mul_hi_u32 v5, v4, v5
	v_add_u32_e32 v4, v4, v5
	v_mul_hi_u32 v4, v2, v4
	v_mul_lo_u32 v5, v4, s34
	v_add_u32_e32 v6, 1, v4
	v_sub_u32_e32 v5, v2, v5
	v_subrev_u32_e32 v7, s34, v5
	v_cmp_le_u32_e32 vcc, s34, v5
	v_cndmask_b32_e32 v5, v5, v7, vcc
	v_cndmask_b32_e32 v4, v4, v6, vcc
	v_add_u32_e32 v6, 1, v4
	v_cmp_le_u32_e32 vcc, s34, v5
	v_cndmask_b32_e32 v4, v4, v6, vcc
	v_mov_b32_e32 v5, 0
.LBB3_6:
	v_mul_lo_u32 v9, v5, s34
	v_mul_lo_u32 v10, v4, s11
	v_mad_u64_u32 v[5:6], s[0:1], v4, s34, 0
	v_mul_lo_u32 v7, v2, s12
	v_add3_u32 v6, v6, v10, v9
	v_sub_co_u32_e32 v5, vcc, v2, v5
	v_sub_u32_e32 v7, v8, v7
	v_subb_co_u32_e32 v6, vcc, 0, v6, vcc
.LBB3_7:
	s_lshr_b32 s0, s10, 16
	s_mul_i32 s7, s7, s0
	v_add_u32_e32 v9, s7, v1
	v_mov_b32_e32 v10, 0
	s_ashr_i32 s37, s18, 31
	s_mov_b32 s36, s18
	v_cmp_gt_i64_e32 vcc, s[36:37], v[9:10]
	s_xor_b64 s[40:41], s[2:3], -1
	s_and_saveexec_b64 s[0:1], vcc
	s_cbranch_execz .LBB3_32
; %bb.8:
	s_and_b32 s0, s10, 0xffff
	s_mul_i32 s6, s6, s0
	v_add_u32_e32 v0, s6, v0
	v_mov_b32_e32 v1, v10
	s_ashr_i32 s39, s19, 31
	s_mov_b32 s38, s19
	v_cmp_gt_i64_e32 vcc, s[38:39], v[0:1]
	s_and_b64 exec, exec, vcc
	s_cbranch_execz .LBB3_32
; %bb.9:
	s_ashr_i32 s35, s17, 31
	v_cmp_gt_i64_e32 vcc, s[34:35], v[5:6]
	v_cmp_gt_i32_e64 s[0:1], s12, v7
	s_and_b64 s[0:1], s[0:1], vcc
	v_cmp_gt_i32_e32 vcc, s16, v4
	s_and_b64 s[0:1], s[0:1], vcc
	s_and_b64 exec, exec, s[0:1]
	s_cbranch_execz .LBB3_32
; %bb.10:
	s_max_u32 s7, s29, 1
	v_cvt_f32_u32_e32 v8, s7
	s_sub_i32 s0, 0, s7
	v_mul_lo_u32 v13, s23, v5
	s_max_u32 s6, s30, 1
	v_rcp_iflag_f32_e32 v8, v8
	v_cvt_f32_u32_e32 v12, s6
	v_subrev_u32_e32 v21, s26, v13
	v_max_i32_e32 v11, 0, v21
	v_mul_f32_e32 v8, 0x4f7ffffe, v8
	v_cvt_u32_f32_e32 v8, v8
	v_add_u32_e32 v11, s26, v11
	v_rcp_iflag_f32_e32 v12, v12
	v_cmp_ne_u32_e32 vcc, v11, v13
	v_mul_lo_u32 v14, s0, v8
	s_max_u32 s18, s31, 1
	v_cndmask_b32_e64 v22, 0, 1, vcc
	v_add_u32_e32 v15, v13, v22
	v_mul_hi_u32 v14, v8, v14
	v_sub_u32_e32 v26, v11, v15
	v_mul_f32_e32 v11, 0x4f7ffffe, v12
	v_mul_lo_u32 v18, v9, s24
	v_add_u32_e32 v8, v8, v14
	v_cvt_f32_u32_e32 v14, s18
	v_cvt_u32_f32_e32 v11, v11
	s_sub_i32 s0, 0, s6
	v_subrev_u32_e32 v20, s27, v18
	v_rcp_iflag_f32_e32 v14, v14
	v_mul_lo_u32 v15, s0, v11
	v_max_i32_e32 v12, 0, v20
	v_add_u32_e32 v12, s27, v12
	v_mul_f32_e32 v14, 0x4f7ffffe, v14
	v_cvt_u32_f32_e32 v14, v14
	v_mul_lo_u32 v19, v0, s25
	v_cmp_ne_u32_e32 vcc, v12, v18
	v_cndmask_b32_e64 v23, 0, 1, vcc
	v_mul_hi_u32 v15, v11, v15
	v_add_u32_e32 v16, v18, v23
	s_sub_i32 s0, 0, s18
	v_sub_u32_e32 v28, v12, v16
	v_mul_lo_u32 v12, s0, v14
	v_subrev_u32_e32 v25, s28, v19
	v_add_u32_e32 v11, v11, v15
	v_max_i32_e32 v15, 0, v25
	v_add_u32_e32 v15, s28, v15
	v_mul_hi_u32 v12, v14, v12
	v_cmp_ne_u32_e32 vcc, v15, v19
	v_cndmask_b32_e64 v24, 0, 1, vcc
	v_add_u32_e32 v16, v19, v24
	v_sub_u32_e32 v27, v15, v16
	v_mad_u64_u32 v[16:17], s[0:1], v26, v8, 0
	v_add_u32_e32 v12, v14, v12
	s_load_dwordx4 s[8:11], s[4:5], 0x0
	v_mad_u64_u32 v[15:16], s[0:1], v28, v11, 0
	v_mad_u64_u32 v[14:15], s[0:1], v27, v12, 0
	s_andn2_b64 vcc, exec, s[40:41]
	s_cbranch_vccnz .LBB3_13
; %bb.11:
	s_ashr_i32 s0, s15, 31
	s_mul_i32 s16, s14, s13
	s_mul_hi_i32 s1, s14, s13
	s_mul_i32 s0, s16, s0
	s_mul_hi_u32 s17, s16, s15
	s_add_i32 s0, s17, s0
	s_mul_i32 s1, s1, s15
	s_add_i32 s0, s0, s1
	s_mul_i32 s16, s16, s15
	v_mul_lo_u32 v8, s0, v2
	v_mul_lo_u32 v14, s16, v3
	v_mad_u64_u32 v[11:12], s[0:1], s16, v2, 0
	v_add3_u32 v12, v12, v14, v8
	v_lshlrev_b64 v[11:12], 1, v[11:12]
	s_waitcnt lgkmcnt(0)
	v_mov_b32_e32 v8, s9
	v_add_co_u32_e32 v11, vcc, s8, v11
	v_addc_co_u32_e32 v12, vcc, v8, v12, vcc
	s_load_dwordx2 s[16:17], s[4:5], 0x10
	v_ashrrev_i32_e32 v8, 31, v7
	s_cbranch_execz .LBB3_14
	s_branch .LBB3_15
.LBB3_12:
                                        ; implicit-def: $vgpr4_vgpr5
	s_branch .LBB3_5
.LBB3_13:
                                        ; implicit-def: $vgpr11_vgpr12
	s_load_dwordx2 s[16:17], s[4:5], 0x10
	v_ashrrev_i32_e32 v8, 31, v7
.LBB3_14:
	s_ashr_i32 s0, s14, 31
	s_mul_i32 s5, s13, s12
	s_mul_hi_i32 s4, s13, s12
	s_mul_i32 s0, s5, s0
	s_mul_hi_u32 s19, s5, s14
	s_add_i32 s0, s19, s0
	s_mul_i32 s4, s4, s14
	s_ashr_i32 s1, s15, 31
	s_add_i32 s0, s0, s4
	s_mul_i32 s4, s5, s14
	s_mul_i32 s1, s4, s1
	s_mul_hi_u32 s5, s4, s15
	s_add_i32 s1, s5, s1
	s_mul_i32 s0, s0, s15
	v_ashrrev_i32_e32 v11, 31, v4
	s_add_i32 s1, s1, s0
	s_mul_i32 s4, s4, s15
	v_mul_lo_u32 v14, s1, v4
	v_mul_lo_u32 v29, s4, v11
	v_mad_u64_u32 v[11:12], s[0:1], s4, v4, 0
	v_add3_u32 v12, v12, v29, v14
	v_lshlrev_b64 v[11:12], 1, v[11:12]
	s_waitcnt lgkmcnt(0)
	v_mov_b32_e32 v14, s9
	v_add_co_u32_e32 v29, vcc, s8, v11
	v_addc_co_u32_e32 v14, vcc, v14, v12, vcc
	v_lshlrev_b64 v[11:12], 1, v[7:8]
	v_add_co_u32_e32 v11, vcc, v29, v11
	v_addc_co_u32_e32 v12, vcc, v14, v12, vcc
.LBB3_15:
	v_mul_lo_u32 v14, v17, s7
	v_add_u32_e32 v29, 1, v17
	s_add_i32 s4, s20, -1
	v_sub_u32_e32 v14, v26, v14
	v_cmp_le_u32_e32 vcc, s7, v14
	v_subrev_u32_e32 v26, s7, v14
	v_cndmask_b32_e32 v17, v17, v29, vcc
	v_cndmask_b32_e32 v14, v14, v26, vcc
	v_add_u32_e32 v26, 1, v17
	v_cmp_le_u32_e32 vcc, s7, v14
	v_cndmask_b32_e32 v14, v17, v26, vcc
	v_mul_lo_u32 v17, v16, s6
	v_add_u32_e32 v14, v14, v22
	v_mad_u64_u32 v[13:14], s[0:1], s29, v14, v[13:14]
	v_sub_u32_e32 v14, v28, v17
	v_add_u32_e32 v17, 1, v16
	v_cmp_le_u32_e32 vcc, s6, v14
	v_cndmask_b32_e32 v16, v16, v17, vcc
	v_subrev_u32_e32 v17, s6, v14
	v_cndmask_b32_e32 v14, v14, v17, vcc
	v_mul_lo_u32 v22, v15, s18
	v_add_u32_e32 v17, 1, v16
	v_cmp_le_u32_e32 vcc, s6, v14
	v_cndmask_b32_e32 v14, v16, v17, vcc
	v_add_u32_e32 v14, v14, v23
	v_mul_lo_u32 v16, s30, v14
	v_sub_u32_e32 v14, v27, v22
	v_add_u32_e32 v17, 1, v15
	v_cmp_le_u32_e32 vcc, s18, v14
	v_cndmask_b32_e32 v15, v15, v17, vcc
	v_subrev_u32_e32 v17, s18, v14
	v_cndmask_b32_e32 v14, v14, v17, vcc
	v_add_u32_e32 v17, 1, v15
	v_cmp_le_u32_e32 vcc, s18, v14
	v_cndmask_b32_e32 v14, v15, v17, vcc
	v_add_u32_e32 v14, v14, v24
	v_mul_lo_u32 v17, s31, v14
	v_subrev_u32_e32 v22, s26, v13
	v_mul_lo_u32 v27, v22, s14
	v_add_u32_e32 v14, v16, v18
	v_add_u32_e32 v13, v17, v19
	v_subrev_u32_e32 v23, s27, v14
	v_subrev_u32_e32 v15, s28, v13
	v_add_u32_e32 v13, v23, v27
	v_mad_u64_u32 v[13:14], s[0:1], v13, s15, v[15:16]
	s_mul_i32 s0, s29, s4
	v_add3_u32 v14, s0, 1, v21
	v_min_i32_e32 v24, s13, v14
	v_ashrrev_i32_e32 v14, 31, v13
	v_cmp_lt_i32_e32 vcc, v22, v24
	v_mov_b32_e32 v21, 0xffffff80
	s_waitcnt lgkmcnt(0)
	s_and_saveexec_b64 s[8:9], vcc
	s_cbranch_execz .LBB3_27
; %bb.16:
	v_add3_u32 v16, v27, v18, v16
	v_subrev_u32_e32 v16, s27, v16
	v_mul_lo_u32 v16, s15, v16
	s_add_i32 s0, s21, -1
	s_mul_i32 s0, s30, s0
	v_add3_u32 v20, s0, 1, v20
	s_add_i32 s0, s22, -1
	s_and_b64 s[2:3], exec, s[2:3]
	v_add3_u32 v16, v16, v19, v17
	s_cselect_b32 s33, s12, 1
	v_subrev_u32_e32 v27, s28, v16
	s_mul_i32 s0, s31, s0
	v_mul_lo_u32 v28, s33, v27
	v_add3_u32 v21, s0, 1, v25
	s_mul_i32 s13, s29, s15
	v_min_i32_e32 v25, s15, v21
	v_min_i32_e32 v26, s14, v20
	s_mul_i32 s13, s13, s14
	s_mul_i32 s27, s30, s15
	v_cmp_lt_i32_e32 vcc, v23, v26
	v_cmp_lt_i32_e64 s[0:1], v15, v25
	s_mul_i32 s26, s13, s33
	s_mul_i32 s28, s27, s33
	;; [unrolled: 1-line block ×3, first 2 shown]
	s_ashr_i32 s42, s31, 31
	s_mov_b32 s43, s31
	v_mov_b32_e32 v21, 0xffffff80
	s_mov_b64 s[14:15], 0
	s_branch .LBB3_19
.LBB3_17:                               ;   in Loop: Header=BB3_19 Depth=1
	s_or_b64 exec, exec, s[20:21]
.LBB3_18:                               ;   in Loop: Header=BB3_19 Depth=1
	s_or_b64 exec, exec, s[18:19]
	v_add_u32_e32 v22, s29, v22
	v_cmp_ge_i32_e64 s[2:3], v22, v24
	v_add_u32_e32 v28, s26, v28
	s_or_b64 s[14:15], s[2:3], s[14:15]
	v_add_u32_e32 v27, s13, v27
	s_andn2_b64 exec, exec, s[14:15]
	s_cbranch_execz .LBB3_26
.LBB3_19:                               ; =>This Loop Header: Depth=1
                                        ;     Child Loop BB3_22 Depth 2
                                        ;       Child Loop BB3_24 Depth 3
	s_and_saveexec_b64 s[18:19], vcc
	s_cbranch_execz .LBB3_18
; %bb.20:                               ;   in Loop: Header=BB3_19 Depth=1
	s_mov_b64 s[20:21], 0
	v_mov_b32_e32 v16, v27
	v_mov_b32_e32 v29, v28
	;; [unrolled: 1-line block ×3, first 2 shown]
	s_branch .LBB3_22
.LBB3_21:                               ;   in Loop: Header=BB3_22 Depth=2
	s_or_b64 exec, exec, s[22:23]
	v_add_u32_e32 v30, s30, v30
	v_cmp_ge_i32_e64 s[2:3], v30, v26
	v_add_u32_e32 v29, s28, v29
	s_or_b64 s[20:21], s[2:3], s[20:21]
	v_add_u32_e32 v16, s27, v16
	s_andn2_b64 exec, exec, s[20:21]
	s_cbranch_execz .LBB3_17
.LBB3_22:                               ;   Parent Loop BB3_19 Depth=1
                                        ; =>  This Loop Header: Depth=2
                                        ;       Child Loop BB3_24 Depth 3
	v_ashrrev_i32_e32 v17, 31, v16
	s_and_saveexec_b64 s[22:23], s[0:1]
	s_cbranch_execz .LBB3_21
; %bb.23:                               ;   in Loop: Header=BB3_22 Depth=2
	v_mov_b32_e32 v18, v17
	s_mov_b64 s[24:25], 0
	v_mov_b32_e32 v17, v16
	v_mov_b32_e32 v19, v29
	;; [unrolled: 1-line block ×3, first 2 shown]
.LBB3_24:                               ;   Parent Loop BB3_19 Depth=1
                                        ;     Parent Loop BB3_22 Depth=2
                                        ; =>    This Inner Loop Header: Depth=3
	v_ashrrev_i32_e32 v20, 31, v19
	v_lshlrev_b64 v[32:33], 1, v[19:20]
	v_add_u32_e32 v31, s31, v31
	v_add_co_u32_e64 v32, s[2:3], v11, v32
	v_addc_co_u32_e64 v33, s[2:3], v12, v33, s[2:3]
	global_load_ushort v20, v[32:33], off
	v_lshlrev_b32_e32 v32, 16, v21
	v_cmp_ge_i32_e64 s[2:3], v31, v25
	v_mov_b32_e32 v33, s42
	v_add_u32_e32 v19, s33, v19
	s_waitcnt vmcnt(0)
	v_lshlrev_b32_e32 v34, 16, v20
	v_cmp_lt_f32_e64 s[4:5], v32, v34
	v_cmp_u_f32_e64 s[6:7], v34, v34
	s_or_b64 s[4:5], s[4:5], s[6:7]
	v_cndmask_b32_e64 v13, v13, v17, s[4:5]
	s_or_b64 s[24:25], s[2:3], s[24:25]
	v_add_co_u32_e64 v17, s[2:3], s43, v17
	v_cndmask_b32_e64 v21, v21, v20, s[4:5]
	v_cndmask_b32_e64 v14, v14, v18, s[4:5]
	v_addc_co_u32_e64 v18, s[2:3], v18, v33, s[2:3]
	s_andn2_b64 exec, exec, s[24:25]
	s_cbranch_execnz .LBB3_24
; %bb.25:                               ;   in Loop: Header=BB3_22 Depth=2
	s_or_b64 exec, exec, s[24:25]
	s_branch .LBB3_21
.LBB3_26:
	s_or_b64 exec, exec, s[14:15]
.LBB3_27:
	s_or_b64 exec, exec, s[8:9]
	s_and_b64 vcc, exec, s[40:41]
	s_cbranch_vccz .LBB3_29
; %bb.28:
	v_mad_u64_u32 v[11:12], s[0:1], v2, s34, v[5:6]
	v_mul_lo_u32 v2, v2, s35
	v_mul_lo_u32 v3, v3, s34
	;; [unrolled: 1-line block ×3, first 2 shown]
	v_add3_u32 v12, v3, v12, v2
	v_mad_u64_u32 v[2:3], s[0:1], v11, s36, v[9:10]
	v_mul_lo_u32 v11, v12, s36
	v_mul_lo_u32 v12, v2, s39
	v_add3_u32 v11, v11, v3, v15
	v_mad_u64_u32 v[2:3], s[0:1], v2, s38, v[0:1]
	v_mul_lo_u32 v11, v11, s38
	v_add3_u32 v3, v11, v3, v12
	s_cbranch_execz .LBB3_30
	s_branch .LBB3_31
.LBB3_29:
                                        ; implicit-def: $vgpr2_vgpr3
.LBB3_30:
	v_mad_i64_i32 v[2:3], s[0:1], v4, s34, v[5:6]
	v_mul_lo_u32 v4, v2, s37
	v_mul_lo_u32 v5, v3, s36
	v_mad_u64_u32 v[2:3], s[0:1], v2, s36, v[9:10]
	v_add3_u32 v3, v5, v3, v4
	v_mul_lo_u32 v4, v2, s39
	v_mad_u64_u32 v[0:1], s[0:1], v2, s38, v[0:1]
	v_mul_lo_u32 v2, v3, s38
	s_ashr_i32 s0, s12, 31
	v_mul_lo_u32 v5, v0, s0
	v_add3_u32 v1, v2, v1, v4
	v_mul_lo_u32 v1, v1, s12
	v_mad_u64_u32 v[2:3], s[0:1], v0, s12, v[7:8]
	v_add3_u32 v3, v1, v3, v5
.LBB3_31:
	v_lshlrev_b64 v[0:1], 1, v[2:3]
	v_mov_b32_e32 v4, s11
	v_add_co_u32_e32 v0, vcc, s10, v0
	v_addc_co_u32_e32 v1, vcc, v4, v1, vcc
	global_store_short v[0:1], v21, off
	v_lshlrev_b64 v[0:1], 3, v[2:3]
	v_mov_b32_e32 v2, s17
	v_add_co_u32_e32 v0, vcc, s16, v0
	v_addc_co_u32_e32 v1, vcc, v2, v1, vcc
	global_store_dwordx2 v[0:1], v[13:14], off
.LBB3_32:
	s_endpgm
	.section	.rodata,"a",@progbits
	.p2align	6, 0x0
	.amdhsa_kernel _ZN2at6native12_GLOBAL__N_140max_pool3d_with_indices_single_out_frameIN3c108BFloat16EEEvPKT_PS5_Pliiiiiiiiiiiiiiiiiiiiib
		.amdhsa_group_segment_fixed_size 0
		.amdhsa_private_segment_fixed_size 0
		.amdhsa_kernarg_size 368
		.amdhsa_user_sgpr_count 6
		.amdhsa_user_sgpr_private_segment_buffer 1
		.amdhsa_user_sgpr_dispatch_ptr 0
		.amdhsa_user_sgpr_queue_ptr 0
		.amdhsa_user_sgpr_kernarg_segment_ptr 1
		.amdhsa_user_sgpr_dispatch_id 0
		.amdhsa_user_sgpr_flat_scratch_init 0
		.amdhsa_user_sgpr_private_segment_size 0
		.amdhsa_uses_dynamic_stack 0
		.amdhsa_system_sgpr_private_segment_wavefront_offset 0
		.amdhsa_system_sgpr_workgroup_id_x 1
		.amdhsa_system_sgpr_workgroup_id_y 1
		.amdhsa_system_sgpr_workgroup_id_z 1
		.amdhsa_system_sgpr_workgroup_info 0
		.amdhsa_system_vgpr_workitem_id 2
		.amdhsa_next_free_vgpr 35
		.amdhsa_next_free_sgpr 44
		.amdhsa_reserve_vcc 1
		.amdhsa_reserve_flat_scratch 0
		.amdhsa_float_round_mode_32 0
		.amdhsa_float_round_mode_16_64 0
		.amdhsa_float_denorm_mode_32 3
		.amdhsa_float_denorm_mode_16_64 3
		.amdhsa_dx10_clamp 1
		.amdhsa_ieee_mode 1
		.amdhsa_fp16_overflow 0
		.amdhsa_exception_fp_ieee_invalid_op 0
		.amdhsa_exception_fp_denorm_src 0
		.amdhsa_exception_fp_ieee_div_zero 0
		.amdhsa_exception_fp_ieee_overflow 0
		.amdhsa_exception_fp_ieee_underflow 0
		.amdhsa_exception_fp_ieee_inexact 0
		.amdhsa_exception_int_div_zero 0
	.end_amdhsa_kernel
	.section	.text._ZN2at6native12_GLOBAL__N_140max_pool3d_with_indices_single_out_frameIN3c108BFloat16EEEvPKT_PS5_Pliiiiiiiiiiiiiiiiiiiiib,"axG",@progbits,_ZN2at6native12_GLOBAL__N_140max_pool3d_with_indices_single_out_frameIN3c108BFloat16EEEvPKT_PS5_Pliiiiiiiiiiiiiiiiiiiiib,comdat
.Lfunc_end3:
	.size	_ZN2at6native12_GLOBAL__N_140max_pool3d_with_indices_single_out_frameIN3c108BFloat16EEEvPKT_PS5_Pliiiiiiiiiiiiiiiiiiiiib, .Lfunc_end3-_ZN2at6native12_GLOBAL__N_140max_pool3d_with_indices_single_out_frameIN3c108BFloat16EEEvPKT_PS5_Pliiiiiiiiiiiiiiiiiiiiib
                                        ; -- End function
	.set _ZN2at6native12_GLOBAL__N_140max_pool3d_with_indices_single_out_frameIN3c108BFloat16EEEvPKT_PS5_Pliiiiiiiiiiiiiiiiiiiiib.num_vgpr, 35
	.set _ZN2at6native12_GLOBAL__N_140max_pool3d_with_indices_single_out_frameIN3c108BFloat16EEEvPKT_PS5_Pliiiiiiiiiiiiiiiiiiiiib.num_agpr, 0
	.set _ZN2at6native12_GLOBAL__N_140max_pool3d_with_indices_single_out_frameIN3c108BFloat16EEEvPKT_PS5_Pliiiiiiiiiiiiiiiiiiiiib.numbered_sgpr, 44
	.set _ZN2at6native12_GLOBAL__N_140max_pool3d_with_indices_single_out_frameIN3c108BFloat16EEEvPKT_PS5_Pliiiiiiiiiiiiiiiiiiiiib.num_named_barrier, 0
	.set _ZN2at6native12_GLOBAL__N_140max_pool3d_with_indices_single_out_frameIN3c108BFloat16EEEvPKT_PS5_Pliiiiiiiiiiiiiiiiiiiiib.private_seg_size, 0
	.set _ZN2at6native12_GLOBAL__N_140max_pool3d_with_indices_single_out_frameIN3c108BFloat16EEEvPKT_PS5_Pliiiiiiiiiiiiiiiiiiiiib.uses_vcc, 1
	.set _ZN2at6native12_GLOBAL__N_140max_pool3d_with_indices_single_out_frameIN3c108BFloat16EEEvPKT_PS5_Pliiiiiiiiiiiiiiiiiiiiib.uses_flat_scratch, 0
	.set _ZN2at6native12_GLOBAL__N_140max_pool3d_with_indices_single_out_frameIN3c108BFloat16EEEvPKT_PS5_Pliiiiiiiiiiiiiiiiiiiiib.has_dyn_sized_stack, 0
	.set _ZN2at6native12_GLOBAL__N_140max_pool3d_with_indices_single_out_frameIN3c108BFloat16EEEvPKT_PS5_Pliiiiiiiiiiiiiiiiiiiiib.has_recursion, 0
	.set _ZN2at6native12_GLOBAL__N_140max_pool3d_with_indices_single_out_frameIN3c108BFloat16EEEvPKT_PS5_Pliiiiiiiiiiiiiiiiiiiiib.has_indirect_call, 0
	.section	.AMDGPU.csdata,"",@progbits
; Kernel info:
; codeLenInByte = 2760
; TotalNumSgprs: 48
; NumVgprs: 35
; ScratchSize: 0
; MemoryBound: 0
; FloatMode: 240
; IeeeMode: 1
; LDSByteSize: 0 bytes/workgroup (compile time only)
; SGPRBlocks: 5
; VGPRBlocks: 8
; NumSGPRsForWavesPerEU: 48
; NumVGPRsForWavesPerEU: 35
; Occupancy: 7
; WaveLimiterHint : 0
; COMPUTE_PGM_RSRC2:SCRATCH_EN: 0
; COMPUTE_PGM_RSRC2:USER_SGPR: 6
; COMPUTE_PGM_RSRC2:TRAP_HANDLER: 0
; COMPUTE_PGM_RSRC2:TGID_X_EN: 1
; COMPUTE_PGM_RSRC2:TGID_Y_EN: 1
; COMPUTE_PGM_RSRC2:TGID_Z_EN: 1
; COMPUTE_PGM_RSRC2:TIDIG_COMP_CNT: 2
	.section	.text._ZN2at6native12_GLOBAL__N_149max_pool3d_with_indices_backward_single_out_frameIdEEvPT_PKS3_PKliiiiiiiiib,"axG",@progbits,_ZN2at6native12_GLOBAL__N_149max_pool3d_with_indices_backward_single_out_frameIdEEvPT_PKS3_PKliiiiiiiiib,comdat
	.globl	_ZN2at6native12_GLOBAL__N_149max_pool3d_with_indices_backward_single_out_frameIdEEvPT_PKS3_PKliiiiiiiiib ; -- Begin function _ZN2at6native12_GLOBAL__N_149max_pool3d_with_indices_backward_single_out_frameIdEEvPT_PKS3_PKliiiiiiiiib
	.p2align	8
	.type	_ZN2at6native12_GLOBAL__N_149max_pool3d_with_indices_backward_single_out_frameIdEEvPT_PKS3_PKliiiiiiiiib,@function
_ZN2at6native12_GLOBAL__N_149max_pool3d_with_indices_backward_single_out_frameIdEEvPT_PKS3_PKliiiiiiiiib: ; @_ZN2at6native12_GLOBAL__N_149max_pool3d_with_indices_backward_single_out_frameIdEEvPT_PKS3_PKliiiiiiiiib
; %bb.0:
	s_load_dwordx8 s[12:19], s[4:5], 0x18
	s_load_dwordx2 s[22:23], s[4:5], 0x38
	s_load_dwordx2 s[10:11], s[4:5], 0x4c
	s_mov_b64 s[0:1], -1
                                        ; implicit-def: $vgpr6_vgpr7
	s_waitcnt lgkmcnt(0)
	s_mov_b32 s2, s17
	s_bitcmp1_b32 s23, 0
	s_cselect_b64 s[20:21], -1, 0
	s_and_b32 s3, s11, 0xffff
	s_mul_i32 s3, s8, s3
	s_add_i32 s3, s3, s22
	v_add_u32_e32 v8, s3, v2
	s_and_b64 vcc, exec, s[20:21]
                                        ; implicit-def: $vgpr2_vgpr3
	s_cbranch_vccnz .LBB4_2
; %bb.1:
	v_cvt_f32_u32_e32 v2, s17
	s_sub_i32 s0, 0, s17
	v_mov_b32_e32 v7, 0
	v_rcp_iflag_f32_e32 v2, v2
	v_mul_f32_e32 v2, 0x4f7ffffe, v2
	v_cvt_u32_f32_e32 v2, v2
	v_mul_lo_u32 v3, s0, v2
	s_mov_b64 s[0:1], 0
	v_mul_hi_u32 v3, v2, v3
	v_add_u32_e32 v2, v2, v3
	v_mul_hi_u32 v2, v8, v2
	v_mul_lo_u32 v3, v2, s17
	v_add_u32_e32 v4, 1, v2
	v_sub_u32_e32 v3, v8, v3
	v_cmp_le_u32_e32 vcc, s17, v3
	v_cndmask_b32_e32 v2, v2, v4, vcc
	v_subrev_u32_e32 v4, s17, v3
	v_cndmask_b32_e32 v3, v3, v4, vcc
	v_add_u32_e32 v4, 1, v2
	v_cmp_le_u32_e32 vcc, s17, v3
	v_cndmask_b32_e32 v2, v2, v4, vcc
	v_mul_lo_u32 v4, v2, s17
	v_mov_b32_e32 v3, v7
	v_sub_u32_e32 v6, v8, v4
.LBB4_2:
	v_mov_b32_e32 v5, 0
	s_andn2_b64 vcc, exec, s[0:1]
	v_mov_b32_e32 v4, 0
	s_cbranch_vccnz .LBB4_7
; %bb.3:
	v_cvt_f32_u32_e32 v2, s12
	s_sub_i32 s0, 0, s12
	s_ashr_i32 s3, s17, 31
	s_mov_b32 s1, s3
	v_rcp_iflag_f32_e32 v2, v2
	v_mul_f32_e32 v2, 0x4f7ffffe, v2
	v_cvt_u32_f32_e32 v2, v2
	v_mul_lo_u32 v3, s0, v2
	s_mov_b32 s0, 0
	s_cmp_lg_u64 s[0:1], 0
	v_mul_hi_u32 v3, v2, v3
	v_add_u32_e32 v2, v2, v3
	v_mul_hi_u32 v2, v8, v2
	v_mul_lo_u32 v3, v2, s12
	v_add_u32_e32 v4, 1, v2
	v_sub_u32_e32 v3, v8, v3
	v_cmp_le_u32_e32 vcc, s12, v3
	v_cndmask_b32_e32 v2, v2, v4, vcc
	v_subrev_u32_e32 v4, s12, v3
	v_cndmask_b32_e32 v3, v3, v4, vcc
	v_add_u32_e32 v4, 1, v2
	v_cmp_le_u32_e32 vcc, s12, v3
	v_cndmask_b32_e32 v2, v2, v4, vcc
	v_mov_b32_e32 v3, 0
	s_cbranch_scc0 .LBB4_12
; %bb.4:
	s_ashr_i32 s8, s3, 31
	s_add_u32 s0, s2, s8
	s_mov_b32 s9, s8
	s_addc_u32 s1, s3, s8
	s_xor_b64 s[22:23], s[0:1], s[8:9]
	v_cvt_f32_u32_e32 v4, s22
	v_cvt_f32_u32_e32 v5, s23
	s_sub_u32 s9, 0, s22
	s_subb_u32 s11, 0, s23
	v_add_co_u32_e32 v9, vcc, 0, v2
	v_madmk_f32 v4, v5, 0x4f800000, v4
	v_rcp_f32_e32 v4, v4
	v_mul_f32_e32 v4, 0x5f7ffffc, v4
	v_mul_f32_e32 v5, 0x2f800000, v4
	v_trunc_f32_e32 v5, v5
	v_madmk_f32 v4, v5, 0xcf800000, v4
	v_cvt_u32_f32_e32 v5, v5
	v_cvt_u32_f32_e32 v4, v4
	v_readfirstlane_b32 s24, v5
	v_readfirstlane_b32 s0, v4
	s_mul_i32 s1, s9, s24
	s_mul_hi_u32 s26, s9, s0
	s_mul_i32 s25, s11, s0
	s_add_i32 s1, s26, s1
	s_add_i32 s1, s1, s25
	s_mul_i32 s27, s9, s0
	s_mul_i32 s26, s0, s1
	s_mul_hi_u32 s28, s0, s27
	s_mul_hi_u32 s25, s0, s1
	s_add_u32 s26, s28, s26
	s_addc_u32 s25, 0, s25
	s_mul_hi_u32 s29, s24, s27
	s_mul_i32 s27, s24, s27
	s_add_u32 s26, s26, s27
	s_mul_hi_u32 s28, s24, s1
	s_addc_u32 s25, s25, s29
	s_addc_u32 s26, s28, 0
	s_mul_i32 s1, s24, s1
	s_add_u32 s1, s25, s1
	s_addc_u32 s25, 0, s26
	s_add_u32 s26, s0, s1
	s_cselect_b64 s[0:1], -1, 0
	s_cmp_lg_u64 s[0:1], 0
	s_addc_u32 s24, s24, s25
	s_mul_i32 s0, s9, s24
	s_mul_hi_u32 s1, s9, s26
	s_add_i32 s0, s1, s0
	s_mul_i32 s11, s11, s26
	s_add_i32 s0, s0, s11
	s_mul_i32 s9, s9, s26
	s_mul_hi_u32 s11, s24, s9
	s_mul_i32 s25, s24, s9
	s_mul_i32 s28, s26, s0
	s_mul_hi_u32 s9, s26, s9
	s_mul_hi_u32 s27, s26, s0
	s_add_u32 s9, s9, s28
	s_addc_u32 s27, 0, s27
	s_add_u32 s9, s9, s25
	s_mul_hi_u32 s1, s24, s0
	s_addc_u32 s9, s27, s11
	s_addc_u32 s1, s1, 0
	s_mul_i32 s0, s24, s0
	s_add_u32 s0, s9, s0
	s_addc_u32 s9, 0, s1
	s_add_u32 s11, s26, s0
	s_cselect_b64 s[0:1], -1, 0
	s_cmp_lg_u64 s[0:1], 0
	s_addc_u32 s9, s24, s9
	v_mad_u64_u32 v[4:5], s[0:1], v9, s9, 0
	v_mul_hi_u32 v6, v9, s11
	v_addc_co_u32_e64 v10, s[0:1], 0, 0, vcc
	v_add_co_u32_e32 v11, vcc, v6, v4
	v_addc_co_u32_e32 v12, vcc, 0, v5, vcc
	v_mad_u64_u32 v[4:5], s[0:1], v10, s11, 0
	v_mad_u64_u32 v[6:7], s[0:1], v10, s9, 0
	v_add_co_u32_e32 v4, vcc, v11, v4
	v_addc_co_u32_e32 v4, vcc, v12, v5, vcc
	v_addc_co_u32_e32 v5, vcc, 0, v7, vcc
	v_add_co_u32_e32 v6, vcc, v4, v6
	v_addc_co_u32_e32 v7, vcc, 0, v5, vcc
	v_mul_lo_u32 v11, s23, v6
	v_mul_lo_u32 v12, s22, v7
	v_mad_u64_u32 v[4:5], s[0:1], s22, v6, 0
	v_add3_u32 v5, v5, v12, v11
	v_sub_u32_e32 v11, v10, v5
	v_mov_b32_e32 v12, s23
	v_sub_co_u32_e32 v4, vcc, v9, v4
	v_subb_co_u32_e64 v9, s[0:1], v11, v12, vcc
	v_subrev_co_u32_e64 v11, s[0:1], s22, v4
	v_subbrev_co_u32_e64 v9, s[0:1], 0, v9, s[0:1]
	v_cmp_le_u32_e64 s[0:1], s23, v9
	v_cndmask_b32_e64 v12, 0, -1, s[0:1]
	v_cmp_le_u32_e64 s[0:1], s22, v11
	v_cndmask_b32_e64 v11, 0, -1, s[0:1]
	v_cmp_eq_u32_e64 s[0:1], s23, v9
	v_cndmask_b32_e64 v9, v12, v11, s[0:1]
	v_add_co_u32_e64 v11, s[0:1], 2, v6
	v_subb_co_u32_e32 v5, vcc, v10, v5, vcc
	v_addc_co_u32_e64 v12, s[0:1], 0, v7, s[0:1]
	v_cmp_le_u32_e32 vcc, s23, v5
	v_add_co_u32_e64 v13, s[0:1], 1, v6
	v_cndmask_b32_e64 v10, 0, -1, vcc
	v_cmp_le_u32_e32 vcc, s22, v4
	v_addc_co_u32_e64 v14, s[0:1], 0, v7, s[0:1]
	v_cndmask_b32_e64 v4, 0, -1, vcc
	v_cmp_eq_u32_e32 vcc, s23, v5
	v_cmp_ne_u32_e64 s[0:1], 0, v9
	v_cndmask_b32_e32 v4, v10, v4, vcc
	v_cndmask_b32_e64 v9, v14, v12, s[0:1]
	v_cmp_ne_u32_e32 vcc, 0, v4
	v_cndmask_b32_e64 v5, v13, v11, s[0:1]
	v_cndmask_b32_e32 v4, v7, v9, vcc
	v_cndmask_b32_e32 v5, v6, v5, vcc
	v_xor_b32_e32 v6, s8, v4
	v_xor_b32_e32 v4, s8, v5
	v_mov_b32_e32 v5, s8
	v_subrev_co_u32_e32 v4, vcc, s8, v4
	v_subb_co_u32_e32 v5, vcc, v6, v5, vcc
	s_cbranch_execnz .LBB4_6
.LBB4_5:
	v_cvt_f32_u32_e32 v4, s2
	s_sub_i32 s0, 0, s2
	v_rcp_iflag_f32_e32 v4, v4
	v_mul_f32_e32 v4, 0x4f7ffffe, v4
	v_cvt_u32_f32_e32 v4, v4
	v_mul_lo_u32 v5, s0, v4
	v_mul_hi_u32 v5, v4, v5
	v_add_u32_e32 v4, v4, v5
	v_mul_hi_u32 v4, v2, v4
	v_mul_lo_u32 v5, v4, s2
	v_add_u32_e32 v6, 1, v4
	v_sub_u32_e32 v5, v2, v5
	v_subrev_u32_e32 v7, s2, v5
	v_cmp_le_u32_e32 vcc, s2, v5
	v_cndmask_b32_e32 v5, v5, v7, vcc
	v_cndmask_b32_e32 v4, v4, v6, vcc
	v_add_u32_e32 v6, 1, v4
	v_cmp_le_u32_e32 vcc, s2, v5
	v_cndmask_b32_e32 v4, v4, v6, vcc
	v_mov_b32_e32 v5, 0
.LBB4_6:
	v_mul_lo_u32 v10, v5, s2
	v_mul_lo_u32 v11, v4, s3
	v_mad_u64_u32 v[6:7], s[0:1], v4, s2, 0
	v_mul_lo_u32 v9, v2, s12
	v_add3_u32 v7, v7, v11, v10
	v_sub_co_u32_e32 v6, vcc, v2, v6
	v_sub_u32_e32 v5, v8, v9
	v_subb_co_u32_e32 v7, vcc, 0, v7, vcc
.LBB4_7:
	s_lshr_b32 s0, s10, 16
	s_mul_i32 s7, s7, s0
	v_add_u32_e32 v8, s7, v1
	v_mov_b32_e32 v9, 0
	s_ashr_i32 s9, s18, 31
	s_mov_b32 s8, s18
	v_cmp_gt_i64_e32 vcc, s[8:9], v[8:9]
	s_xor_b64 s[20:21], s[20:21], -1
	s_and_saveexec_b64 s[0:1], vcc
	s_cbranch_execz .LBB4_22
; %bb.8:
	s_and_b32 s0, s10, 0xffff
	s_mul_i32 s6, s6, s0
	v_add_u32_e32 v0, s6, v0
	v_mov_b32_e32 v1, v9
	s_ashr_i32 s7, s19, 31
	s_mov_b32 s6, s19
	v_cmp_gt_i64_e32 vcc, s[6:7], v[0:1]
	s_and_b64 exec, exec, vcc
	s_cbranch_execz .LBB4_22
; %bb.9:
	s_ashr_i32 s3, s17, 31
	v_cmp_gt_i64_e32 vcc, s[2:3], v[6:7]
	v_cmp_gt_i32_e64 s[0:1], s16, v4
	s_and_b64 s[0:1], vcc, s[0:1]
	v_cmp_gt_i32_e32 vcc, s12, v5
	s_and_b64 s[0:1], vcc, s[0:1]
	s_and_b64 exec, exec, s[0:1]
	s_cbranch_execz .LBB4_22
; %bb.10:
	v_cndmask_b32_e64 v10, 0, 1, s[20:21]
	v_cmp_ne_u32_e64 s[0:1], 1, v10
	s_andn2_b64 vcc, exec, s[20:21]
	s_cbranch_vccnz .LBB4_13
; %bb.11:
	v_mad_u64_u32 v[10:11], s[10:11], v2, s2, v[6:7]
	v_mul_lo_u32 v12, v2, s3
	v_mul_lo_u32 v13, v3, s2
	v_add3_u32 v12, v13, v11, v12
	v_mul_lo_u32 v13, v10, s9
	v_mad_u64_u32 v[10:11], s[10:11], v10, s8, v[8:9]
	v_mul_lo_u32 v12, v12, s8
	v_add3_u32 v12, v12, v11, v13
	v_mul_lo_u32 v13, v10, s7
	v_mad_u64_u32 v[10:11], s[10:11], v10, s6, v[0:1]
	v_mul_lo_u32 v12, v12, s6
	v_add3_u32 v11, v12, v11, v13
	s_cbranch_execz .LBB4_14
	s_branch .LBB4_15
.LBB4_12:
                                        ; implicit-def: $vgpr4_vgpr5
	s_branch .LBB4_5
.LBB4_13:
                                        ; implicit-def: $vgpr10_vgpr11
.LBB4_14:
	v_mad_i64_i32 v[6:7], s[2:3], v4, s2, v[6:7]
	v_mul_lo_u32 v10, v6, s9
	v_mul_lo_u32 v11, v7, s8
	v_mad_u64_u32 v[6:7], s[2:3], v6, s8, v[8:9]
	v_add3_u32 v7, v11, v7, v10
	v_mul_lo_u32 v8, v6, s7
	v_mad_u64_u32 v[0:1], s[2:3], v6, s6, v[0:1]
	v_mul_lo_u32 v7, v7, s6
	s_ashr_i32 s2, s12, 31
	v_ashrrev_i32_e32 v6, 31, v5
	v_add3_u32 v1, v7, v1, v8
	v_mul_lo_u32 v1, v1, s12
	v_mul_lo_u32 v7, v0, s2
	v_mad_u64_u32 v[10:11], s[2:3], v0, s12, v[5:6]
	v_add3_u32 v11, v1, v11, v7
.LBB4_15:
	s_load_dwordx2 s[2:3], s[4:5], 0x10
	v_lshlrev_b64 v[0:1], 3, v[10:11]
	s_waitcnt lgkmcnt(0)
	v_mov_b32_e32 v7, s3
	v_add_co_u32_e32 v6, vcc, s2, v0
	v_addc_co_u32_e32 v7, vcc, v7, v1, vcc
	global_load_dwordx2 v[6:7], v[6:7], off
	s_mov_b64 s[2:3], -1
	s_waitcnt vmcnt(0)
	v_cmp_ne_u64_e32 vcc, -1, v[6:7]
	s_and_b64 exec, exec, vcc
	s_cbranch_execz .LBB4_22
; %bb.16:
	s_load_dwordx4 s[4:7], s[4:5], 0x0
	s_and_b64 vcc, exec, s[0:1]
	s_mul_hi_i32 s9, s14, s13
	s_mul_i32 s1, s14, s13
	s_mul_hi_u32 s8, s1, s15
	s_mul_i32 s9, s9, s15
	s_mul_i32 s0, s1, s15
                                        ; implicit-def: $vgpr8_vgpr9
	s_cbranch_vccnz .LBB4_18
; %bb.17:
	s_ashr_i32 s2, s15, 31
	s_mul_i32 s2, s1, s2
	s_add_i32 s2, s8, s2
	s_add_i32 s10, s2, s9
	v_mul_lo_u32 v3, s0, v3
	v_mad_u64_u32 v[8:9], s[2:3], s0, v2, 0
	v_mul_lo_u32 v2, s10, v2
	s_mov_b64 s[2:3], 0
	v_add3_u32 v9, v9, v3, v2
.LBB4_18:
	s_andn2_b64 vcc, exec, s[2:3]
	s_cbranch_vccnz .LBB4_20
; %bb.19:
	s_ashr_i32 s2, s15, 31
	s_mul_i32 s1, s1, s2
	s_add_i32 s1, s8, s1
	v_ashrrev_i32_e32 v2, 31, v4
	s_add_i32 s1, s1, s9
	v_mul_lo_u32 v8, s0, v2
	v_mul_lo_u32 v9, s1, v4
	v_mad_u64_u32 v[2:3], s[0:1], s0, v4, v[6:7]
	s_ashr_i32 s0, s12, 31
	v_ashrrev_i32_e32 v6, 31, v5
	v_add3_u32 v3, v9, v3, v8
	v_mul_lo_u32 v3, v3, s12
	v_mul_lo_u32 v4, v2, s0
	v_mad_u64_u32 v[8:9], s[0:1], v2, s12, 0
	v_mov_b32_e32 v7, v6
	v_mov_b32_e32 v6, v5
	v_add3_u32 v9, v9, v4, v3
.LBB4_20:
	v_lshlrev_b64 v[2:3], 3, v[8:9]
	s_waitcnt lgkmcnt(0)
	v_mov_b32_e32 v4, s5
	v_add_co_u32_e32 v5, vcc, s4, v2
	v_addc_co_u32_e32 v8, vcc, v4, v3, vcc
	v_lshlrev_b64 v[2:3], 3, v[6:7]
	s_mov_b64 s[0:1], 0
	v_add_co_u32_e32 v4, vcc, v5, v2
	v_addc_co_u32_e32 v5, vcc, v8, v3, vcc
	v_mov_b32_e32 v2, s7
	v_add_co_u32_e32 v0, vcc, s6, v0
	v_addc_co_u32_e32 v1, vcc, v2, v1, vcc
	global_load_dwordx2 v[6:7], v[0:1], off
	global_load_dwordx2 v[2:3], v[4:5], off
.LBB4_21:                               ; =>This Inner Loop Header: Depth=1
	s_waitcnt vmcnt(0)
	v_add_f64 v[0:1], v[2:3], v[6:7]
	global_atomic_cmpswap_x2 v[0:1], v[4:5], v[0:3], off glc
	s_waitcnt vmcnt(0)
	v_cmp_eq_u64_e32 vcc, v[0:1], v[2:3]
	v_mov_b32_e32 v3, v1
	s_or_b64 s[0:1], vcc, s[0:1]
	v_mov_b32_e32 v2, v0
	s_andn2_b64 exec, exec, s[0:1]
	s_cbranch_execnz .LBB4_21
.LBB4_22:
	s_endpgm
	.section	.rodata,"a",@progbits
	.p2align	6, 0x0
	.amdhsa_kernel _ZN2at6native12_GLOBAL__N_149max_pool3d_with_indices_backward_single_out_frameIdEEvPT_PKS3_PKliiiiiiiiib
		.amdhsa_group_segment_fixed_size 0
		.amdhsa_private_segment_fixed_size 0
		.amdhsa_kernarg_size 320
		.amdhsa_user_sgpr_count 6
		.amdhsa_user_sgpr_private_segment_buffer 1
		.amdhsa_user_sgpr_dispatch_ptr 0
		.amdhsa_user_sgpr_queue_ptr 0
		.amdhsa_user_sgpr_kernarg_segment_ptr 1
		.amdhsa_user_sgpr_dispatch_id 0
		.amdhsa_user_sgpr_flat_scratch_init 0
		.amdhsa_user_sgpr_private_segment_size 0
		.amdhsa_uses_dynamic_stack 0
		.amdhsa_system_sgpr_private_segment_wavefront_offset 0
		.amdhsa_system_sgpr_workgroup_id_x 1
		.amdhsa_system_sgpr_workgroup_id_y 1
		.amdhsa_system_sgpr_workgroup_id_z 1
		.amdhsa_system_sgpr_workgroup_info 0
		.amdhsa_system_vgpr_workitem_id 2
		.amdhsa_next_free_vgpr 15
		.amdhsa_next_free_sgpr 30
		.amdhsa_reserve_vcc 1
		.amdhsa_reserve_flat_scratch 0
		.amdhsa_float_round_mode_32 0
		.amdhsa_float_round_mode_16_64 0
		.amdhsa_float_denorm_mode_32 3
		.amdhsa_float_denorm_mode_16_64 3
		.amdhsa_dx10_clamp 1
		.amdhsa_ieee_mode 1
		.amdhsa_fp16_overflow 0
		.amdhsa_exception_fp_ieee_invalid_op 0
		.amdhsa_exception_fp_denorm_src 0
		.amdhsa_exception_fp_ieee_div_zero 0
		.amdhsa_exception_fp_ieee_overflow 0
		.amdhsa_exception_fp_ieee_underflow 0
		.amdhsa_exception_fp_ieee_inexact 0
		.amdhsa_exception_int_div_zero 0
	.end_amdhsa_kernel
	.section	.text._ZN2at6native12_GLOBAL__N_149max_pool3d_with_indices_backward_single_out_frameIdEEvPT_PKS3_PKliiiiiiiiib,"axG",@progbits,_ZN2at6native12_GLOBAL__N_149max_pool3d_with_indices_backward_single_out_frameIdEEvPT_PKS3_PKliiiiiiiiib,comdat
.Lfunc_end4:
	.size	_ZN2at6native12_GLOBAL__N_149max_pool3d_with_indices_backward_single_out_frameIdEEvPT_PKS3_PKliiiiiiiiib, .Lfunc_end4-_ZN2at6native12_GLOBAL__N_149max_pool3d_with_indices_backward_single_out_frameIdEEvPT_PKS3_PKliiiiiiiiib
                                        ; -- End function
	.set _ZN2at6native12_GLOBAL__N_149max_pool3d_with_indices_backward_single_out_frameIdEEvPT_PKS3_PKliiiiiiiiib.num_vgpr, 15
	.set _ZN2at6native12_GLOBAL__N_149max_pool3d_with_indices_backward_single_out_frameIdEEvPT_PKS3_PKliiiiiiiiib.num_agpr, 0
	.set _ZN2at6native12_GLOBAL__N_149max_pool3d_with_indices_backward_single_out_frameIdEEvPT_PKS3_PKliiiiiiiiib.numbered_sgpr, 30
	.set _ZN2at6native12_GLOBAL__N_149max_pool3d_with_indices_backward_single_out_frameIdEEvPT_PKS3_PKliiiiiiiiib.num_named_barrier, 0
	.set _ZN2at6native12_GLOBAL__N_149max_pool3d_with_indices_backward_single_out_frameIdEEvPT_PKS3_PKliiiiiiiiib.private_seg_size, 0
	.set _ZN2at6native12_GLOBAL__N_149max_pool3d_with_indices_backward_single_out_frameIdEEvPT_PKS3_PKliiiiiiiiib.uses_vcc, 1
	.set _ZN2at6native12_GLOBAL__N_149max_pool3d_with_indices_backward_single_out_frameIdEEvPT_PKS3_PKliiiiiiiiib.uses_flat_scratch, 0
	.set _ZN2at6native12_GLOBAL__N_149max_pool3d_with_indices_backward_single_out_frameIdEEvPT_PKS3_PKliiiiiiiiib.has_dyn_sized_stack, 0
	.set _ZN2at6native12_GLOBAL__N_149max_pool3d_with_indices_backward_single_out_frameIdEEvPT_PKS3_PKliiiiiiiiib.has_recursion, 0
	.set _ZN2at6native12_GLOBAL__N_149max_pool3d_with_indices_backward_single_out_frameIdEEvPT_PKS3_PKliiiiiiiiib.has_indirect_call, 0
	.section	.AMDGPU.csdata,"",@progbits
; Kernel info:
; codeLenInByte = 1828
; TotalNumSgprs: 34
; NumVgprs: 15
; ScratchSize: 0
; MemoryBound: 0
; FloatMode: 240
; IeeeMode: 1
; LDSByteSize: 0 bytes/workgroup (compile time only)
; SGPRBlocks: 4
; VGPRBlocks: 3
; NumSGPRsForWavesPerEU: 34
; NumVGPRsForWavesPerEU: 15
; Occupancy: 10
; WaveLimiterHint : 0
; COMPUTE_PGM_RSRC2:SCRATCH_EN: 0
; COMPUTE_PGM_RSRC2:USER_SGPR: 6
; COMPUTE_PGM_RSRC2:TRAP_HANDLER: 0
; COMPUTE_PGM_RSRC2:TGID_X_EN: 1
; COMPUTE_PGM_RSRC2:TGID_Y_EN: 1
; COMPUTE_PGM_RSRC2:TGID_Z_EN: 1
; COMPUTE_PGM_RSRC2:TIDIG_COMP_CNT: 2
	.section	.text._ZN2at6native12_GLOBAL__N_149max_pool3d_with_indices_backward_single_out_frameIfEEvPT_PKS3_PKliiiiiiiiib,"axG",@progbits,_ZN2at6native12_GLOBAL__N_149max_pool3d_with_indices_backward_single_out_frameIfEEvPT_PKS3_PKliiiiiiiiib,comdat
	.globl	_ZN2at6native12_GLOBAL__N_149max_pool3d_with_indices_backward_single_out_frameIfEEvPT_PKS3_PKliiiiiiiiib ; -- Begin function _ZN2at6native12_GLOBAL__N_149max_pool3d_with_indices_backward_single_out_frameIfEEvPT_PKS3_PKliiiiiiiiib
	.p2align	8
	.type	_ZN2at6native12_GLOBAL__N_149max_pool3d_with_indices_backward_single_out_frameIfEEvPT_PKS3_PKliiiiiiiiib,@function
_ZN2at6native12_GLOBAL__N_149max_pool3d_with_indices_backward_single_out_frameIfEEvPT_PKS3_PKliiiiiiiiib: ; @_ZN2at6native12_GLOBAL__N_149max_pool3d_with_indices_backward_single_out_frameIfEEvPT_PKS3_PKliiiiiiiiib
; %bb.0:
	s_load_dwordx8 s[12:19], s[4:5], 0x18
	s_load_dwordx2 s[22:23], s[4:5], 0x38
	s_load_dwordx2 s[10:11], s[4:5], 0x4c
	s_mov_b64 s[0:1], -1
                                        ; implicit-def: $vgpr6_vgpr7
	s_waitcnt lgkmcnt(0)
	s_mov_b32 s2, s17
	s_bitcmp1_b32 s23, 0
	s_cselect_b64 s[20:21], -1, 0
	s_and_b32 s3, s11, 0xffff
	s_mul_i32 s3, s8, s3
	s_add_i32 s3, s3, s22
	v_add_u32_e32 v8, s3, v2
	s_and_b64 vcc, exec, s[20:21]
                                        ; implicit-def: $vgpr2_vgpr3
	s_cbranch_vccnz .LBB5_2
; %bb.1:
	v_cvt_f32_u32_e32 v2, s17
	s_sub_i32 s0, 0, s17
	v_mov_b32_e32 v7, 0
	v_rcp_iflag_f32_e32 v2, v2
	v_mul_f32_e32 v2, 0x4f7ffffe, v2
	v_cvt_u32_f32_e32 v2, v2
	v_mul_lo_u32 v3, s0, v2
	s_mov_b64 s[0:1], 0
	v_mul_hi_u32 v3, v2, v3
	v_add_u32_e32 v2, v2, v3
	v_mul_hi_u32 v2, v8, v2
	v_mul_lo_u32 v3, v2, s17
	v_add_u32_e32 v4, 1, v2
	v_sub_u32_e32 v3, v8, v3
	v_cmp_le_u32_e32 vcc, s17, v3
	v_cndmask_b32_e32 v2, v2, v4, vcc
	v_subrev_u32_e32 v4, s17, v3
	v_cndmask_b32_e32 v3, v3, v4, vcc
	v_add_u32_e32 v4, 1, v2
	v_cmp_le_u32_e32 vcc, s17, v3
	v_cndmask_b32_e32 v2, v2, v4, vcc
	v_mul_lo_u32 v4, v2, s17
	v_mov_b32_e32 v3, v7
	v_sub_u32_e32 v6, v8, v4
.LBB5_2:
	v_mov_b32_e32 v5, 0
	s_andn2_b64 vcc, exec, s[0:1]
	v_mov_b32_e32 v4, 0
	s_cbranch_vccnz .LBB5_7
; %bb.3:
	v_cvt_f32_u32_e32 v2, s12
	s_sub_i32 s0, 0, s12
	s_ashr_i32 s3, s17, 31
	s_mov_b32 s1, s3
	v_rcp_iflag_f32_e32 v2, v2
	v_mul_f32_e32 v2, 0x4f7ffffe, v2
	v_cvt_u32_f32_e32 v2, v2
	v_mul_lo_u32 v3, s0, v2
	s_mov_b32 s0, 0
	s_cmp_lg_u64 s[0:1], 0
	v_mul_hi_u32 v3, v2, v3
	v_add_u32_e32 v2, v2, v3
	v_mul_hi_u32 v2, v8, v2
	v_mul_lo_u32 v3, v2, s12
	v_add_u32_e32 v4, 1, v2
	v_sub_u32_e32 v3, v8, v3
	v_cmp_le_u32_e32 vcc, s12, v3
	v_cndmask_b32_e32 v2, v2, v4, vcc
	v_subrev_u32_e32 v4, s12, v3
	v_cndmask_b32_e32 v3, v3, v4, vcc
	v_add_u32_e32 v4, 1, v2
	v_cmp_le_u32_e32 vcc, s12, v3
	v_cndmask_b32_e32 v2, v2, v4, vcc
	v_mov_b32_e32 v3, 0
	s_cbranch_scc0 .LBB5_12
; %bb.4:
	s_ashr_i32 s8, s3, 31
	s_add_u32 s0, s2, s8
	s_mov_b32 s9, s8
	s_addc_u32 s1, s3, s8
	s_xor_b64 s[22:23], s[0:1], s[8:9]
	v_cvt_f32_u32_e32 v4, s22
	v_cvt_f32_u32_e32 v5, s23
	s_sub_u32 s9, 0, s22
	s_subb_u32 s11, 0, s23
	v_add_co_u32_e32 v9, vcc, 0, v2
	v_madmk_f32 v4, v5, 0x4f800000, v4
	v_rcp_f32_e32 v4, v4
	v_mul_f32_e32 v4, 0x5f7ffffc, v4
	v_mul_f32_e32 v5, 0x2f800000, v4
	v_trunc_f32_e32 v5, v5
	v_madmk_f32 v4, v5, 0xcf800000, v4
	v_cvt_u32_f32_e32 v5, v5
	v_cvt_u32_f32_e32 v4, v4
	v_readfirstlane_b32 s24, v5
	v_readfirstlane_b32 s0, v4
	s_mul_i32 s1, s9, s24
	s_mul_hi_u32 s26, s9, s0
	s_mul_i32 s25, s11, s0
	s_add_i32 s1, s26, s1
	s_add_i32 s1, s1, s25
	s_mul_i32 s27, s9, s0
	s_mul_i32 s26, s0, s1
	s_mul_hi_u32 s28, s0, s27
	s_mul_hi_u32 s25, s0, s1
	s_add_u32 s26, s28, s26
	s_addc_u32 s25, 0, s25
	s_mul_hi_u32 s29, s24, s27
	s_mul_i32 s27, s24, s27
	s_add_u32 s26, s26, s27
	s_mul_hi_u32 s28, s24, s1
	s_addc_u32 s25, s25, s29
	s_addc_u32 s26, s28, 0
	s_mul_i32 s1, s24, s1
	s_add_u32 s1, s25, s1
	s_addc_u32 s25, 0, s26
	s_add_u32 s26, s0, s1
	s_cselect_b64 s[0:1], -1, 0
	s_cmp_lg_u64 s[0:1], 0
	s_addc_u32 s24, s24, s25
	s_mul_i32 s0, s9, s24
	s_mul_hi_u32 s1, s9, s26
	s_add_i32 s0, s1, s0
	s_mul_i32 s11, s11, s26
	s_add_i32 s0, s0, s11
	s_mul_i32 s9, s9, s26
	s_mul_hi_u32 s11, s24, s9
	s_mul_i32 s25, s24, s9
	s_mul_i32 s28, s26, s0
	s_mul_hi_u32 s9, s26, s9
	s_mul_hi_u32 s27, s26, s0
	s_add_u32 s9, s9, s28
	s_addc_u32 s27, 0, s27
	s_add_u32 s9, s9, s25
	s_mul_hi_u32 s1, s24, s0
	s_addc_u32 s9, s27, s11
	s_addc_u32 s1, s1, 0
	s_mul_i32 s0, s24, s0
	s_add_u32 s0, s9, s0
	s_addc_u32 s9, 0, s1
	s_add_u32 s11, s26, s0
	s_cselect_b64 s[0:1], -1, 0
	s_cmp_lg_u64 s[0:1], 0
	s_addc_u32 s9, s24, s9
	v_mad_u64_u32 v[4:5], s[0:1], v9, s9, 0
	v_mul_hi_u32 v6, v9, s11
	v_addc_co_u32_e64 v10, s[0:1], 0, 0, vcc
	v_add_co_u32_e32 v11, vcc, v6, v4
	v_addc_co_u32_e32 v12, vcc, 0, v5, vcc
	v_mad_u64_u32 v[4:5], s[0:1], v10, s11, 0
	v_mad_u64_u32 v[6:7], s[0:1], v10, s9, 0
	v_add_co_u32_e32 v4, vcc, v11, v4
	v_addc_co_u32_e32 v4, vcc, v12, v5, vcc
	v_addc_co_u32_e32 v5, vcc, 0, v7, vcc
	v_add_co_u32_e32 v6, vcc, v4, v6
	v_addc_co_u32_e32 v7, vcc, 0, v5, vcc
	v_mul_lo_u32 v11, s23, v6
	v_mul_lo_u32 v12, s22, v7
	v_mad_u64_u32 v[4:5], s[0:1], s22, v6, 0
	v_add3_u32 v5, v5, v12, v11
	v_sub_u32_e32 v11, v10, v5
	v_mov_b32_e32 v12, s23
	v_sub_co_u32_e32 v4, vcc, v9, v4
	v_subb_co_u32_e64 v9, s[0:1], v11, v12, vcc
	v_subrev_co_u32_e64 v11, s[0:1], s22, v4
	v_subbrev_co_u32_e64 v9, s[0:1], 0, v9, s[0:1]
	v_cmp_le_u32_e64 s[0:1], s23, v9
	v_cndmask_b32_e64 v12, 0, -1, s[0:1]
	v_cmp_le_u32_e64 s[0:1], s22, v11
	v_cndmask_b32_e64 v11, 0, -1, s[0:1]
	v_cmp_eq_u32_e64 s[0:1], s23, v9
	v_cndmask_b32_e64 v9, v12, v11, s[0:1]
	v_add_co_u32_e64 v11, s[0:1], 2, v6
	v_subb_co_u32_e32 v5, vcc, v10, v5, vcc
	v_addc_co_u32_e64 v12, s[0:1], 0, v7, s[0:1]
	v_cmp_le_u32_e32 vcc, s23, v5
	v_add_co_u32_e64 v13, s[0:1], 1, v6
	v_cndmask_b32_e64 v10, 0, -1, vcc
	v_cmp_le_u32_e32 vcc, s22, v4
	v_addc_co_u32_e64 v14, s[0:1], 0, v7, s[0:1]
	v_cndmask_b32_e64 v4, 0, -1, vcc
	v_cmp_eq_u32_e32 vcc, s23, v5
	v_cmp_ne_u32_e64 s[0:1], 0, v9
	v_cndmask_b32_e32 v4, v10, v4, vcc
	v_cndmask_b32_e64 v9, v14, v12, s[0:1]
	v_cmp_ne_u32_e32 vcc, 0, v4
	v_cndmask_b32_e64 v5, v13, v11, s[0:1]
	v_cndmask_b32_e32 v4, v7, v9, vcc
	v_cndmask_b32_e32 v5, v6, v5, vcc
	v_xor_b32_e32 v6, s8, v4
	v_xor_b32_e32 v4, s8, v5
	v_mov_b32_e32 v5, s8
	v_subrev_co_u32_e32 v4, vcc, s8, v4
	v_subb_co_u32_e32 v5, vcc, v6, v5, vcc
	s_cbranch_execnz .LBB5_6
.LBB5_5:
	v_cvt_f32_u32_e32 v4, s2
	s_sub_i32 s0, 0, s2
	v_rcp_iflag_f32_e32 v4, v4
	v_mul_f32_e32 v4, 0x4f7ffffe, v4
	v_cvt_u32_f32_e32 v4, v4
	v_mul_lo_u32 v5, s0, v4
	v_mul_hi_u32 v5, v4, v5
	v_add_u32_e32 v4, v4, v5
	v_mul_hi_u32 v4, v2, v4
	v_mul_lo_u32 v5, v4, s2
	v_add_u32_e32 v6, 1, v4
	v_sub_u32_e32 v5, v2, v5
	v_subrev_u32_e32 v7, s2, v5
	v_cmp_le_u32_e32 vcc, s2, v5
	v_cndmask_b32_e32 v5, v5, v7, vcc
	v_cndmask_b32_e32 v4, v4, v6, vcc
	v_add_u32_e32 v6, 1, v4
	v_cmp_le_u32_e32 vcc, s2, v5
	v_cndmask_b32_e32 v4, v4, v6, vcc
	v_mov_b32_e32 v5, 0
.LBB5_6:
	v_mul_lo_u32 v10, v5, s2
	v_mul_lo_u32 v11, v4, s3
	v_mad_u64_u32 v[6:7], s[0:1], v4, s2, 0
	v_mul_lo_u32 v9, v2, s12
	v_add3_u32 v7, v7, v11, v10
	v_sub_co_u32_e32 v6, vcc, v2, v6
	v_sub_u32_e32 v5, v8, v9
	v_subb_co_u32_e32 v7, vcc, 0, v7, vcc
.LBB5_7:
	s_lshr_b32 s0, s10, 16
	s_mul_i32 s7, s7, s0
	v_add_u32_e32 v8, s7, v1
	v_mov_b32_e32 v9, 0
	s_ashr_i32 s9, s18, 31
	s_mov_b32 s8, s18
	v_cmp_gt_i64_e32 vcc, s[8:9], v[8:9]
	s_xor_b64 s[20:21], s[20:21], -1
	s_and_saveexec_b64 s[0:1], vcc
	s_cbranch_execz .LBB5_22
; %bb.8:
	s_and_b32 s0, s10, 0xffff
	s_mul_i32 s6, s6, s0
	v_add_u32_e32 v10, s6, v0
	v_mov_b32_e32 v11, v9
	s_ashr_i32 s7, s19, 31
	s_mov_b32 s6, s19
	v_cmp_gt_i64_e32 vcc, s[6:7], v[10:11]
	s_and_b64 exec, exec, vcc
	s_cbranch_execz .LBB5_22
; %bb.9:
	s_ashr_i32 s3, s17, 31
	v_cmp_gt_i64_e32 vcc, s[2:3], v[6:7]
	v_cmp_gt_i32_e64 s[0:1], s16, v4
	s_and_b64 s[0:1], vcc, s[0:1]
	v_cmp_gt_i32_e32 vcc, s12, v5
	s_and_b64 s[0:1], vcc, s[0:1]
	s_and_b64 exec, exec, s[0:1]
	s_cbranch_execz .LBB5_22
; %bb.10:
	v_cndmask_b32_e64 v0, 0, 1, s[20:21]
	v_cmp_ne_u32_e64 s[0:1], 1, v0
	s_andn2_b64 vcc, exec, s[20:21]
	s_cbranch_vccnz .LBB5_13
; %bb.11:
	v_mad_u64_u32 v[0:1], s[10:11], v2, s2, v[6:7]
	v_mul_lo_u32 v12, v2, s3
	v_mul_lo_u32 v13, v3, s2
	v_add3_u32 v12, v13, v1, v12
	v_mul_lo_u32 v13, v0, s9
	v_mad_u64_u32 v[0:1], s[10:11], v0, s8, v[8:9]
	v_mul_lo_u32 v12, v12, s8
	v_add3_u32 v12, v12, v1, v13
	v_mul_lo_u32 v13, v0, s7
	v_mad_u64_u32 v[0:1], s[10:11], v0, s6, v[10:11]
	v_mul_lo_u32 v12, v12, s6
	v_add3_u32 v1, v12, v1, v13
	s_cbranch_execz .LBB5_14
	s_branch .LBB5_15
.LBB5_12:
                                        ; implicit-def: $vgpr4_vgpr5
	s_branch .LBB5_5
.LBB5_13:
                                        ; implicit-def: $vgpr0_vgpr1
.LBB5_14:
	v_mad_i64_i32 v[0:1], s[2:3], v4, s2, v[6:7]
	v_mul_lo_u32 v6, v0, s9
	v_mul_lo_u32 v7, v1, s8
	v_mad_u64_u32 v[0:1], s[2:3], v0, s8, v[8:9]
	v_add3_u32 v6, v7, v1, v6
	v_mul_lo_u32 v7, v0, s7
	v_mad_u64_u32 v[0:1], s[2:3], v0, s6, v[10:11]
	v_mul_lo_u32 v8, v6, s6
	s_ashr_i32 s2, s12, 31
	v_ashrrev_i32_e32 v6, 31, v5
	v_add3_u32 v1, v8, v1, v7
	v_mul_lo_u32 v7, v1, s12
	v_mul_lo_u32 v8, v0, s2
	v_mad_u64_u32 v[0:1], s[2:3], v0, s12, v[5:6]
	v_add3_u32 v1, v7, v1, v8
.LBB5_15:
	s_load_dwordx2 s[2:3], s[4:5], 0x10
	v_lshlrev_b64 v[6:7], 3, v[0:1]
	s_waitcnt lgkmcnt(0)
	v_mov_b32_e32 v8, s3
	v_add_co_u32_e32 v6, vcc, s2, v6
	v_addc_co_u32_e32 v7, vcc, v8, v7, vcc
	global_load_dwordx2 v[6:7], v[6:7], off
	s_mov_b64 s[2:3], -1
	s_waitcnt vmcnt(0)
	v_cmp_ne_u64_e32 vcc, -1, v[6:7]
	s_and_b64 exec, exec, vcc
	s_cbranch_execz .LBB5_22
; %bb.16:
	s_load_dwordx4 s[4:7], s[4:5], 0x0
	s_and_b64 vcc, exec, s[0:1]
	s_mul_hi_i32 s9, s14, s13
	s_mul_i32 s1, s14, s13
	s_mul_hi_u32 s8, s1, s15
	s_mul_i32 s9, s9, s15
	s_mul_i32 s0, s1, s15
                                        ; implicit-def: $vgpr8_vgpr9
	s_cbranch_vccnz .LBB5_18
; %bb.17:
	s_ashr_i32 s2, s15, 31
	s_mul_i32 s2, s1, s2
	s_add_i32 s2, s8, s2
	s_add_i32 s10, s2, s9
	v_mul_lo_u32 v3, s0, v3
	v_mad_u64_u32 v[8:9], s[2:3], s0, v2, 0
	v_mul_lo_u32 v2, s10, v2
	s_mov_b64 s[2:3], 0
	v_add3_u32 v9, v9, v3, v2
.LBB5_18:
	s_andn2_b64 vcc, exec, s[2:3]
	s_cbranch_vccnz .LBB5_20
; %bb.19:
	s_ashr_i32 s2, s15, 31
	s_mul_i32 s1, s1, s2
	s_add_i32 s1, s8, s1
	v_ashrrev_i32_e32 v2, 31, v4
	s_add_i32 s1, s1, s9
	v_mul_lo_u32 v8, s0, v2
	v_mul_lo_u32 v9, s1, v4
	v_mad_u64_u32 v[2:3], s[0:1], s0, v4, v[6:7]
	s_ashr_i32 s0, s12, 31
	v_ashrrev_i32_e32 v6, 31, v5
	v_add3_u32 v3, v9, v3, v8
	v_mul_lo_u32 v3, v3, s12
	v_mul_lo_u32 v4, v2, s0
	v_mad_u64_u32 v[8:9], s[0:1], v2, s12, 0
	v_mov_b32_e32 v7, v6
	v_mov_b32_e32 v6, v5
	v_add3_u32 v9, v9, v4, v3
.LBB5_20:
	v_lshlrev_b64 v[2:3], 2, v[8:9]
	s_waitcnt lgkmcnt(0)
	v_mov_b32_e32 v4, s5
	v_add_co_u32_e32 v5, vcc, s4, v2
	v_addc_co_u32_e32 v4, vcc, v4, v3, vcc
	v_lshlrev_b64 v[2:3], 2, v[6:7]
	v_lshlrev_b64 v[0:1], 2, v[0:1]
	v_add_co_u32_e32 v2, vcc, v5, v2
	v_addc_co_u32_e32 v3, vcc, v4, v3, vcc
	v_mov_b32_e32 v4, s7
	v_add_co_u32_e32 v5, vcc, s6, v0
	v_addc_co_u32_e32 v6, vcc, v4, v1, vcc
	global_load_dword v4, v[5:6], off
	global_load_dword v1, v[2:3], off
	s_mov_b64 s[0:1], 0
.LBB5_21:                               ; =>This Inner Loop Header: Depth=1
	s_waitcnt vmcnt(0)
	v_add_f32_e32 v0, v1, v4
	global_atomic_cmpswap v0, v[2:3], v[0:1], off glc
	s_waitcnt vmcnt(0)
	v_cmp_eq_u32_e32 vcc, v0, v1
	s_or_b64 s[0:1], vcc, s[0:1]
	v_mov_b32_e32 v1, v0
	s_andn2_b64 exec, exec, s[0:1]
	s_cbranch_execnz .LBB5_21
.LBB5_22:
	s_endpgm
	.section	.rodata,"a",@progbits
	.p2align	6, 0x0
	.amdhsa_kernel _ZN2at6native12_GLOBAL__N_149max_pool3d_with_indices_backward_single_out_frameIfEEvPT_PKS3_PKliiiiiiiiib
		.amdhsa_group_segment_fixed_size 0
		.amdhsa_private_segment_fixed_size 0
		.amdhsa_kernarg_size 320
		.amdhsa_user_sgpr_count 6
		.amdhsa_user_sgpr_private_segment_buffer 1
		.amdhsa_user_sgpr_dispatch_ptr 0
		.amdhsa_user_sgpr_queue_ptr 0
		.amdhsa_user_sgpr_kernarg_segment_ptr 1
		.amdhsa_user_sgpr_dispatch_id 0
		.amdhsa_user_sgpr_flat_scratch_init 0
		.amdhsa_user_sgpr_private_segment_size 0
		.amdhsa_uses_dynamic_stack 0
		.amdhsa_system_sgpr_private_segment_wavefront_offset 0
		.amdhsa_system_sgpr_workgroup_id_x 1
		.amdhsa_system_sgpr_workgroup_id_y 1
		.amdhsa_system_sgpr_workgroup_id_z 1
		.amdhsa_system_sgpr_workgroup_info 0
		.amdhsa_system_vgpr_workitem_id 2
		.amdhsa_next_free_vgpr 15
		.amdhsa_next_free_sgpr 30
		.amdhsa_reserve_vcc 1
		.amdhsa_reserve_flat_scratch 0
		.amdhsa_float_round_mode_32 0
		.amdhsa_float_round_mode_16_64 0
		.amdhsa_float_denorm_mode_32 3
		.amdhsa_float_denorm_mode_16_64 3
		.amdhsa_dx10_clamp 1
		.amdhsa_ieee_mode 1
		.amdhsa_fp16_overflow 0
		.amdhsa_exception_fp_ieee_invalid_op 0
		.amdhsa_exception_fp_denorm_src 0
		.amdhsa_exception_fp_ieee_div_zero 0
		.amdhsa_exception_fp_ieee_overflow 0
		.amdhsa_exception_fp_ieee_underflow 0
		.amdhsa_exception_fp_ieee_inexact 0
		.amdhsa_exception_int_div_zero 0
	.end_amdhsa_kernel
	.section	.text._ZN2at6native12_GLOBAL__N_149max_pool3d_with_indices_backward_single_out_frameIfEEvPT_PKS3_PKliiiiiiiiib,"axG",@progbits,_ZN2at6native12_GLOBAL__N_149max_pool3d_with_indices_backward_single_out_frameIfEEvPT_PKS3_PKliiiiiiiiib,comdat
.Lfunc_end5:
	.size	_ZN2at6native12_GLOBAL__N_149max_pool3d_with_indices_backward_single_out_frameIfEEvPT_PKS3_PKliiiiiiiiib, .Lfunc_end5-_ZN2at6native12_GLOBAL__N_149max_pool3d_with_indices_backward_single_out_frameIfEEvPT_PKS3_PKliiiiiiiiib
                                        ; -- End function
	.set _ZN2at6native12_GLOBAL__N_149max_pool3d_with_indices_backward_single_out_frameIfEEvPT_PKS3_PKliiiiiiiiib.num_vgpr, 15
	.set _ZN2at6native12_GLOBAL__N_149max_pool3d_with_indices_backward_single_out_frameIfEEvPT_PKS3_PKliiiiiiiiib.num_agpr, 0
	.set _ZN2at6native12_GLOBAL__N_149max_pool3d_with_indices_backward_single_out_frameIfEEvPT_PKS3_PKliiiiiiiiib.numbered_sgpr, 30
	.set _ZN2at6native12_GLOBAL__N_149max_pool3d_with_indices_backward_single_out_frameIfEEvPT_PKS3_PKliiiiiiiiib.num_named_barrier, 0
	.set _ZN2at6native12_GLOBAL__N_149max_pool3d_with_indices_backward_single_out_frameIfEEvPT_PKS3_PKliiiiiiiiib.private_seg_size, 0
	.set _ZN2at6native12_GLOBAL__N_149max_pool3d_with_indices_backward_single_out_frameIfEEvPT_PKS3_PKliiiiiiiiib.uses_vcc, 1
	.set _ZN2at6native12_GLOBAL__N_149max_pool3d_with_indices_backward_single_out_frameIfEEvPT_PKS3_PKliiiiiiiiib.uses_flat_scratch, 0
	.set _ZN2at6native12_GLOBAL__N_149max_pool3d_with_indices_backward_single_out_frameIfEEvPT_PKS3_PKliiiiiiiiib.has_dyn_sized_stack, 0
	.set _ZN2at6native12_GLOBAL__N_149max_pool3d_with_indices_backward_single_out_frameIfEEvPT_PKS3_PKliiiiiiiiib.has_recursion, 0
	.set _ZN2at6native12_GLOBAL__N_149max_pool3d_with_indices_backward_single_out_frameIfEEvPT_PKS3_PKliiiiiiiiib.has_indirect_call, 0
	.section	.AMDGPU.csdata,"",@progbits
; Kernel info:
; codeLenInByte = 1828
; TotalNumSgprs: 34
; NumVgprs: 15
; ScratchSize: 0
; MemoryBound: 0
; FloatMode: 240
; IeeeMode: 1
; LDSByteSize: 0 bytes/workgroup (compile time only)
; SGPRBlocks: 4
; VGPRBlocks: 3
; NumSGPRsForWavesPerEU: 34
; NumVGPRsForWavesPerEU: 15
; Occupancy: 10
; WaveLimiterHint : 0
; COMPUTE_PGM_RSRC2:SCRATCH_EN: 0
; COMPUTE_PGM_RSRC2:USER_SGPR: 6
; COMPUTE_PGM_RSRC2:TRAP_HANDLER: 0
; COMPUTE_PGM_RSRC2:TGID_X_EN: 1
; COMPUTE_PGM_RSRC2:TGID_Y_EN: 1
; COMPUTE_PGM_RSRC2:TGID_Z_EN: 1
; COMPUTE_PGM_RSRC2:TIDIG_COMP_CNT: 2
	.section	.text._ZN2at6native12_GLOBAL__N_149max_pool3d_with_indices_backward_single_out_frameIN3c104HalfEEEvPT_PKS5_PKliiiiiiiiib,"axG",@progbits,_ZN2at6native12_GLOBAL__N_149max_pool3d_with_indices_backward_single_out_frameIN3c104HalfEEEvPT_PKS5_PKliiiiiiiiib,comdat
	.globl	_ZN2at6native12_GLOBAL__N_149max_pool3d_with_indices_backward_single_out_frameIN3c104HalfEEEvPT_PKS5_PKliiiiiiiiib ; -- Begin function _ZN2at6native12_GLOBAL__N_149max_pool3d_with_indices_backward_single_out_frameIN3c104HalfEEEvPT_PKS5_PKliiiiiiiiib
	.p2align	8
	.type	_ZN2at6native12_GLOBAL__N_149max_pool3d_with_indices_backward_single_out_frameIN3c104HalfEEEvPT_PKS5_PKliiiiiiiiib,@function
_ZN2at6native12_GLOBAL__N_149max_pool3d_with_indices_backward_single_out_frameIN3c104HalfEEEvPT_PKS5_PKliiiiiiiiib: ; @_ZN2at6native12_GLOBAL__N_149max_pool3d_with_indices_backward_single_out_frameIN3c104HalfEEEvPT_PKS5_PKliiiiiiiiib
; %bb.0:
	s_load_dwordx8 s[12:19], s[4:5], 0x18
	s_load_dwordx2 s[22:23], s[4:5], 0x38
	s_load_dwordx2 s[10:11], s[4:5], 0x4c
	s_mov_b64 s[0:1], -1
                                        ; implicit-def: $vgpr6_vgpr7
	s_waitcnt lgkmcnt(0)
	s_mov_b32 s2, s17
	s_bitcmp1_b32 s23, 0
	s_cselect_b64 s[20:21], -1, 0
	s_and_b32 s3, s11, 0xffff
	s_mul_i32 s3, s8, s3
	s_add_i32 s3, s3, s22
	v_add_u32_e32 v8, s3, v2
	s_and_b64 vcc, exec, s[20:21]
                                        ; implicit-def: $vgpr2_vgpr3
	s_cbranch_vccnz .LBB6_2
; %bb.1:
	v_cvt_f32_u32_e32 v2, s17
	s_sub_i32 s0, 0, s17
	v_mov_b32_e32 v7, 0
	v_rcp_iflag_f32_e32 v2, v2
	v_mul_f32_e32 v2, 0x4f7ffffe, v2
	v_cvt_u32_f32_e32 v2, v2
	v_mul_lo_u32 v3, s0, v2
	s_mov_b64 s[0:1], 0
	v_mul_hi_u32 v3, v2, v3
	v_add_u32_e32 v2, v2, v3
	v_mul_hi_u32 v2, v8, v2
	v_mul_lo_u32 v3, v2, s17
	v_add_u32_e32 v4, 1, v2
	v_sub_u32_e32 v3, v8, v3
	v_cmp_le_u32_e32 vcc, s17, v3
	v_cndmask_b32_e32 v2, v2, v4, vcc
	v_subrev_u32_e32 v4, s17, v3
	v_cndmask_b32_e32 v3, v3, v4, vcc
	v_add_u32_e32 v4, 1, v2
	v_cmp_le_u32_e32 vcc, s17, v3
	v_cndmask_b32_e32 v2, v2, v4, vcc
	v_mul_lo_u32 v4, v2, s17
	v_mov_b32_e32 v3, v7
	v_sub_u32_e32 v6, v8, v4
.LBB6_2:
	v_mov_b32_e32 v4, 0
	s_andn2_b64 vcc, exec, s[0:1]
	v_mov_b32_e32 v5, 0
	s_cbranch_vccnz .LBB6_7
; %bb.3:
	v_cvt_f32_u32_e32 v2, s12
	s_sub_i32 s0, 0, s12
	s_ashr_i32 s3, s17, 31
	s_mov_b32 s1, s3
	v_rcp_iflag_f32_e32 v2, v2
	v_mul_f32_e32 v2, 0x4f7ffffe, v2
	v_cvt_u32_f32_e32 v2, v2
	v_mul_lo_u32 v3, s0, v2
	s_mov_b32 s0, 0
	s_cmp_lg_u64 s[0:1], 0
	v_mul_hi_u32 v3, v2, v3
	v_add_u32_e32 v2, v2, v3
	v_mul_hi_u32 v2, v8, v2
	v_mul_lo_u32 v3, v2, s12
	v_add_u32_e32 v4, 1, v2
	v_sub_u32_e32 v3, v8, v3
	v_cmp_le_u32_e32 vcc, s12, v3
	v_cndmask_b32_e32 v2, v2, v4, vcc
	v_subrev_u32_e32 v4, s12, v3
	v_cndmask_b32_e32 v3, v3, v4, vcc
	v_add_u32_e32 v4, 1, v2
	v_cmp_le_u32_e32 vcc, s12, v3
	v_cndmask_b32_e32 v2, v2, v4, vcc
	v_mov_b32_e32 v3, 0
	s_cbranch_scc0 .LBB6_12
; %bb.4:
	s_ashr_i32 s8, s3, 31
	s_add_u32 s0, s2, s8
	s_mov_b32 s9, s8
	s_addc_u32 s1, s3, s8
	s_xor_b64 s[22:23], s[0:1], s[8:9]
	v_cvt_f32_u32_e32 v4, s22
	v_cvt_f32_u32_e32 v5, s23
	s_sub_u32 s9, 0, s22
	s_subb_u32 s11, 0, s23
	v_add_co_u32_e32 v9, vcc, 0, v2
	v_madmk_f32 v4, v5, 0x4f800000, v4
	v_rcp_f32_e32 v4, v4
	v_mul_f32_e32 v4, 0x5f7ffffc, v4
	v_mul_f32_e32 v5, 0x2f800000, v4
	v_trunc_f32_e32 v5, v5
	v_madmk_f32 v4, v5, 0xcf800000, v4
	v_cvt_u32_f32_e32 v5, v5
	v_cvt_u32_f32_e32 v4, v4
	v_readfirstlane_b32 s24, v5
	v_readfirstlane_b32 s0, v4
	s_mul_i32 s1, s9, s24
	s_mul_hi_u32 s26, s9, s0
	s_mul_i32 s25, s11, s0
	s_add_i32 s1, s26, s1
	s_add_i32 s1, s1, s25
	s_mul_i32 s27, s9, s0
	s_mul_i32 s26, s0, s1
	s_mul_hi_u32 s28, s0, s27
	s_mul_hi_u32 s25, s0, s1
	s_add_u32 s26, s28, s26
	s_addc_u32 s25, 0, s25
	s_mul_hi_u32 s29, s24, s27
	s_mul_i32 s27, s24, s27
	s_add_u32 s26, s26, s27
	s_mul_hi_u32 s28, s24, s1
	s_addc_u32 s25, s25, s29
	s_addc_u32 s26, s28, 0
	s_mul_i32 s1, s24, s1
	s_add_u32 s1, s25, s1
	s_addc_u32 s25, 0, s26
	s_add_u32 s26, s0, s1
	s_cselect_b64 s[0:1], -1, 0
	s_cmp_lg_u64 s[0:1], 0
	s_addc_u32 s24, s24, s25
	s_mul_i32 s0, s9, s24
	s_mul_hi_u32 s1, s9, s26
	s_add_i32 s0, s1, s0
	s_mul_i32 s11, s11, s26
	s_add_i32 s0, s0, s11
	s_mul_i32 s9, s9, s26
	s_mul_hi_u32 s11, s24, s9
	s_mul_i32 s25, s24, s9
	s_mul_i32 s28, s26, s0
	s_mul_hi_u32 s9, s26, s9
	s_mul_hi_u32 s27, s26, s0
	s_add_u32 s9, s9, s28
	s_addc_u32 s27, 0, s27
	s_add_u32 s9, s9, s25
	s_mul_hi_u32 s1, s24, s0
	s_addc_u32 s9, s27, s11
	s_addc_u32 s1, s1, 0
	s_mul_i32 s0, s24, s0
	s_add_u32 s0, s9, s0
	s_addc_u32 s9, 0, s1
	s_add_u32 s11, s26, s0
	s_cselect_b64 s[0:1], -1, 0
	s_cmp_lg_u64 s[0:1], 0
	s_addc_u32 s9, s24, s9
	v_mad_u64_u32 v[4:5], s[0:1], v9, s9, 0
	v_mul_hi_u32 v6, v9, s11
	v_addc_co_u32_e64 v10, s[0:1], 0, 0, vcc
	v_add_co_u32_e32 v11, vcc, v6, v4
	v_addc_co_u32_e32 v12, vcc, 0, v5, vcc
	v_mad_u64_u32 v[4:5], s[0:1], v10, s11, 0
	v_mad_u64_u32 v[6:7], s[0:1], v10, s9, 0
	v_add_co_u32_e32 v4, vcc, v11, v4
	v_addc_co_u32_e32 v4, vcc, v12, v5, vcc
	v_addc_co_u32_e32 v5, vcc, 0, v7, vcc
	v_add_co_u32_e32 v6, vcc, v4, v6
	v_addc_co_u32_e32 v7, vcc, 0, v5, vcc
	v_mul_lo_u32 v11, s23, v6
	v_mul_lo_u32 v12, s22, v7
	v_mad_u64_u32 v[4:5], s[0:1], s22, v6, 0
	v_add3_u32 v5, v5, v12, v11
	v_sub_u32_e32 v11, v10, v5
	v_mov_b32_e32 v12, s23
	v_sub_co_u32_e32 v4, vcc, v9, v4
	v_subb_co_u32_e64 v9, s[0:1], v11, v12, vcc
	v_subrev_co_u32_e64 v11, s[0:1], s22, v4
	v_subbrev_co_u32_e64 v9, s[0:1], 0, v9, s[0:1]
	v_cmp_le_u32_e64 s[0:1], s23, v9
	v_cndmask_b32_e64 v12, 0, -1, s[0:1]
	v_cmp_le_u32_e64 s[0:1], s22, v11
	v_cndmask_b32_e64 v11, 0, -1, s[0:1]
	v_cmp_eq_u32_e64 s[0:1], s23, v9
	v_cndmask_b32_e64 v9, v12, v11, s[0:1]
	v_add_co_u32_e64 v11, s[0:1], 2, v6
	v_subb_co_u32_e32 v5, vcc, v10, v5, vcc
	v_addc_co_u32_e64 v12, s[0:1], 0, v7, s[0:1]
	v_cmp_le_u32_e32 vcc, s23, v5
	v_add_co_u32_e64 v13, s[0:1], 1, v6
	v_cndmask_b32_e64 v10, 0, -1, vcc
	v_cmp_le_u32_e32 vcc, s22, v4
	v_addc_co_u32_e64 v14, s[0:1], 0, v7, s[0:1]
	v_cndmask_b32_e64 v4, 0, -1, vcc
	v_cmp_eq_u32_e32 vcc, s23, v5
	v_cmp_ne_u32_e64 s[0:1], 0, v9
	v_cndmask_b32_e32 v4, v10, v4, vcc
	v_cndmask_b32_e64 v9, v14, v12, s[0:1]
	v_cmp_ne_u32_e32 vcc, 0, v4
	v_cndmask_b32_e64 v5, v13, v11, s[0:1]
	v_cndmask_b32_e32 v4, v7, v9, vcc
	v_cndmask_b32_e32 v5, v6, v5, vcc
	v_xor_b32_e32 v6, s8, v4
	v_xor_b32_e32 v4, s8, v5
	v_mov_b32_e32 v5, s8
	v_subrev_co_u32_e32 v4, vcc, s8, v4
	v_subb_co_u32_e32 v5, vcc, v6, v5, vcc
	s_cbranch_execnz .LBB6_6
.LBB6_5:
	v_cvt_f32_u32_e32 v4, s2
	s_sub_i32 s0, 0, s2
	v_rcp_iflag_f32_e32 v4, v4
	v_mul_f32_e32 v4, 0x4f7ffffe, v4
	v_cvt_u32_f32_e32 v4, v4
	v_mul_lo_u32 v5, s0, v4
	v_mul_hi_u32 v5, v4, v5
	v_add_u32_e32 v4, v4, v5
	v_mul_hi_u32 v4, v2, v4
	v_mul_lo_u32 v5, v4, s2
	v_add_u32_e32 v6, 1, v4
	v_sub_u32_e32 v5, v2, v5
	v_subrev_u32_e32 v7, s2, v5
	v_cmp_le_u32_e32 vcc, s2, v5
	v_cndmask_b32_e32 v5, v5, v7, vcc
	v_cndmask_b32_e32 v4, v4, v6, vcc
	v_add_u32_e32 v6, 1, v4
	v_cmp_le_u32_e32 vcc, s2, v5
	v_cndmask_b32_e32 v4, v4, v6, vcc
	v_mov_b32_e32 v5, 0
.LBB6_6:
	v_mul_lo_u32 v10, v5, s2
	v_mul_lo_u32 v11, v4, s3
	v_mad_u64_u32 v[6:7], s[0:1], v4, s2, 0
	v_mul_lo_u32 v9, v2, s12
	v_add3_u32 v7, v7, v11, v10
	v_sub_co_u32_e32 v6, vcc, v2, v6
	v_sub_u32_e32 v5, v8, v9
	v_subb_co_u32_e32 v7, vcc, 0, v7, vcc
.LBB6_7:
	s_lshr_b32 s0, s10, 16
	s_mul_i32 s7, s7, s0
	v_add_u32_e32 v8, s7, v1
	v_mov_b32_e32 v9, 0
	s_ashr_i32 s9, s18, 31
	s_mov_b32 s8, s18
	v_cmp_gt_i64_e32 vcc, s[8:9], v[8:9]
	s_xor_b64 s[20:21], s[20:21], -1
	s_and_saveexec_b64 s[0:1], vcc
	s_cbranch_execz .LBB6_31
; %bb.8:
	s_and_b32 s0, s10, 0xffff
	s_mul_i32 s6, s6, s0
	v_add_u32_e32 v0, s6, v0
	v_mov_b32_e32 v1, v9
	s_ashr_i32 s7, s19, 31
	s_mov_b32 s6, s19
	v_cmp_gt_i64_e32 vcc, s[6:7], v[0:1]
	s_and_b64 exec, exec, vcc
	s_cbranch_execz .LBB6_31
; %bb.9:
	s_ashr_i32 s3, s17, 31
	v_cmp_gt_i64_e32 vcc, s[2:3], v[6:7]
	v_cmp_gt_i32_e64 s[0:1], s16, v4
	s_and_b64 s[0:1], vcc, s[0:1]
	v_cmp_gt_i32_e32 vcc, s12, v5
	s_and_b64 s[0:1], vcc, s[0:1]
	s_and_b64 exec, exec, s[0:1]
	s_cbranch_execz .LBB6_31
; %bb.10:
	v_cndmask_b32_e64 v10, 0, 1, s[20:21]
	v_cmp_ne_u32_e64 s[0:1], 1, v10
	s_andn2_b64 vcc, exec, s[20:21]
	s_cbranch_vccnz .LBB6_13
; %bb.11:
	v_mad_u64_u32 v[10:11], s[10:11], v2, s2, v[6:7]
	v_mul_lo_u32 v12, v2, s3
	v_mul_lo_u32 v13, v3, s2
	v_add3_u32 v12, v13, v11, v12
	v_mul_lo_u32 v13, v10, s9
	v_mad_u64_u32 v[10:11], s[10:11], v10, s8, v[8:9]
	v_mul_lo_u32 v12, v12, s8
	v_add3_u32 v12, v12, v11, v13
	v_mul_lo_u32 v13, v10, s7
	v_mad_u64_u32 v[10:11], s[10:11], v10, s6, v[0:1]
	v_mul_lo_u32 v12, v12, s6
	v_add3_u32 v11, v12, v11, v13
	s_cbranch_execz .LBB6_14
	s_branch .LBB6_15
.LBB6_12:
                                        ; implicit-def: $vgpr4_vgpr5
	s_branch .LBB6_5
.LBB6_13:
                                        ; implicit-def: $vgpr10_vgpr11
.LBB6_14:
	v_mad_i64_i32 v[6:7], s[2:3], v4, s2, v[6:7]
	v_mul_lo_u32 v10, v6, s9
	v_mul_lo_u32 v11, v7, s8
	v_mad_u64_u32 v[6:7], s[2:3], v6, s8, v[8:9]
	v_add3_u32 v7, v11, v7, v10
	v_mul_lo_u32 v8, v6, s7
	v_mad_u64_u32 v[0:1], s[2:3], v6, s6, v[0:1]
	v_mul_lo_u32 v7, v7, s6
	s_ashr_i32 s2, s12, 31
	v_ashrrev_i32_e32 v6, 31, v5
	v_add3_u32 v1, v7, v1, v8
	v_mul_lo_u32 v1, v1, s12
	v_mul_lo_u32 v7, v0, s2
	v_mad_u64_u32 v[10:11], s[2:3], v0, s12, v[5:6]
	v_add3_u32 v11, v1, v11, v7
.LBB6_15:
	s_load_dwordx2 s[2:3], s[4:5], 0x10
	v_lshlrev_b64 v[0:1], 3, v[10:11]
	s_waitcnt lgkmcnt(0)
	v_mov_b32_e32 v6, s3
	v_add_co_u32_e32 v0, vcc, s2, v0
	v_addc_co_u32_e32 v1, vcc, v6, v1, vcc
	global_load_dwordx2 v[6:7], v[0:1], off
	s_mov_b64 s[2:3], -1
	s_waitcnt vmcnt(0)
	v_cmp_ne_u64_e32 vcc, -1, v[6:7]
	s_and_b64 exec, exec, vcc
	s_cbranch_execz .LBB6_31
; %bb.16:
	s_load_dwordx4 s[4:7], s[4:5], 0x0
	s_and_b64 vcc, exec, s[0:1]
	s_mul_hi_i32 s0, s14, s13
	s_mul_i32 s10, s14, s13
	v_lshlrev_b64 v[0:1], 1, v[10:11]
	s_mul_hi_u32 s11, s10, s15
	s_mul_i32 s13, s0, s15
	s_mul_i32 s14, s10, s15
	s_cbranch_vccnz .LBB6_24
; %bb.17:
	s_ashr_i32 s0, s15, 31
	s_mul_i32 s0, s10, s0
	s_add_i32 s0, s11, s0
	s_add_i32 s2, s0, s13
	v_mul_lo_u32 v3, s14, v3
	v_mad_u64_u32 v[8:9], s[0:1], s14, v2, 0
	v_mul_lo_u32 v2, s2, v2
	v_mov_b32_e32 v12, 0
	s_mov_b64 s[8:9], 0
	s_mov_b32 s16, 0xffff0000
	v_add3_u32 v9, v9, v3, v2
	v_lshlrev_b64 v[2:3], 1, v[8:9]
	s_waitcnt lgkmcnt(0)
	v_mov_b32_e32 v8, s5
	v_add_co_u32_e32 v9, vcc, s4, v2
	v_addc_co_u32_e32 v8, vcc, v8, v3, vcc
	v_lshlrev_b64 v[2:3], 1, v[6:7]
	v_add_co_u32_e32 v9, vcc, v9, v2
	v_addc_co_u32_e32 v8, vcc, v8, v3, vcc
	v_mov_b32_e32 v3, s7
	v_add_co_u32_e32 v2, vcc, s6, v0
	v_addc_co_u32_e32 v3, vcc, v3, v1, vcc
	v_and_b32_e32 v11, 2, v9
	global_load_ushort v10, v[2:3], off
	v_sub_co_u32_e32 v2, vcc, 0, v11
	v_subb_co_u32_e64 v3, s[0:1], 0, 0, vcc
	v_add_co_u32_e32 v2, vcc, v9, v2
	v_addc_co_u32_e32 v3, vcc, v8, v3, vcc
	global_load_dword v9, v[2:3], off
	v_cmp_eq_u64_e32 vcc, 0, v[11:12]
	v_cmp_ne_u32_e64 s[0:1], 0, v11
	s_branch .LBB6_19
.LBB6_18:                               ;   in Loop: Header=BB6_19 Depth=1
	s_or_b64 exec, exec, s[2:3]
	global_atomic_cmpswap v8, v[2:3], v[8:9], off glc
	s_waitcnt vmcnt(0)
	v_cmp_eq_u32_e64 s[2:3], v9, v8
	s_or_b64 s[8:9], s[2:3], s[8:9]
	v_mov_b32_e32 v9, v8
	s_andn2_b64 exec, exec, s[8:9]
	s_cbranch_execz .LBB6_23
.LBB6_19:                               ; =>This Inner Loop Header: Depth=1
	s_waitcnt vmcnt(0)
	v_cndmask_b32_sdwa v8, v9, v9, vcc dst_sel:DWORD dst_unused:UNUSED_PAD src0_sel:WORD_1 src1_sel:DWORD
	v_add_f16_e32 v11, v10, v8
	s_and_saveexec_b64 s[2:3], s[0:1]
	s_xor_b64 s[2:3], exec, s[2:3]
; %bb.20:                               ;   in Loop: Header=BB6_19 Depth=1
	v_and_b32_e32 v8, 0xffff, v9
	v_lshl_or_b32 v8, v11, 16, v8
                                        ; implicit-def: $vgpr11
; %bb.21:                               ;   in Loop: Header=BB6_19 Depth=1
	s_andn2_saveexec_b64 s[2:3], s[2:3]
	s_cbranch_execz .LBB6_18
; %bb.22:                               ;   in Loop: Header=BB6_19 Depth=1
	v_and_or_b32 v8, v9, s16, v11
	s_branch .LBB6_18
.LBB6_23:
	s_or_b64 exec, exec, s[8:9]
	s_mov_b64 s[2:3], 0
.LBB6_24:
	s_and_b64 vcc, exec, s[2:3]
	s_cbranch_vccz .LBB6_31
; %bb.25:
	s_ashr_i32 s0, s15, 31
	s_mul_i32 s10, s10, s0
	s_add_i32 s0, s11, s10
	v_ashrrev_i32_e32 v2, 31, v4
	s_add_i32 s0, s0, s13
	v_mul_lo_u32 v8, s14, v2
	v_mul_lo_u32 v9, s0, v4
	v_mad_u64_u32 v[2:3], s[0:1], s14, v4, v[6:7]
	s_ashr_i32 s0, s12, 31
	v_add3_u32 v3, v9, v3, v8
	v_mul_lo_u32 v4, v3, s12
	v_mul_lo_u32 v6, v2, s0
	v_mad_u64_u32 v[2:3], s[0:1], v2, s12, 0
	v_add3_u32 v3, v3, v6, v4
	v_lshlrev_b64 v[2:3], 1, v[2:3]
	v_ashrrev_i32_e32 v6, 31, v5
	s_waitcnt lgkmcnt(0)
	v_mov_b32_e32 v4, s5
	v_add_co_u32_e32 v7, vcc, s4, v2
	v_addc_co_u32_e32 v4, vcc, v4, v3, vcc
	v_lshlrev_b64 v[2:3], 1, v[5:6]
	v_mov_b32_e32 v6, 0
	v_add_co_u32_e32 v2, vcc, v7, v2
	v_addc_co_u32_e32 v3, vcc, v4, v3, vcc
	v_mov_b32_e32 v4, s7
	v_add_co_u32_e32 v0, vcc, s6, v0
	v_addc_co_u32_e32 v1, vcc, v4, v1, vcc
	v_and_b32_e32 v5, 2, v2
	global_load_ushort v4, v[0:1], off
	v_sub_co_u32_e32 v0, vcc, 0, v5
	v_subb_co_u32_e64 v1, s[0:1], 0, 0, vcc
	v_add_co_u32_e32 v0, vcc, v2, v0
	v_addc_co_u32_e32 v1, vcc, v3, v1, vcc
	global_load_dword v3, v[0:1], off
	v_cmp_eq_u64_e32 vcc, 0, v[5:6]
	s_mov_b64 s[4:5], 0
	v_cmp_ne_u32_e64 s[0:1], 0, v5
	s_mov_b32 s6, 0xffff0000
	s_branch .LBB6_27
.LBB6_26:                               ;   in Loop: Header=BB6_27 Depth=1
	s_or_b64 exec, exec, s[2:3]
	global_atomic_cmpswap v2, v[0:1], v[2:3], off glc
	s_waitcnt vmcnt(0)
	v_cmp_eq_u32_e64 s[2:3], v3, v2
	s_or_b64 s[4:5], s[2:3], s[4:5]
	v_mov_b32_e32 v3, v2
	s_andn2_b64 exec, exec, s[4:5]
	s_cbranch_execz .LBB6_31
.LBB6_27:                               ; =>This Inner Loop Header: Depth=1
	s_waitcnt vmcnt(0)
	v_cndmask_b32_sdwa v2, v3, v3, vcc dst_sel:DWORD dst_unused:UNUSED_PAD src0_sel:WORD_1 src1_sel:DWORD
	v_add_f16_e32 v5, v4, v2
	s_and_saveexec_b64 s[2:3], s[0:1]
	s_xor_b64 s[2:3], exec, s[2:3]
; %bb.28:                               ;   in Loop: Header=BB6_27 Depth=1
	v_and_b32_e32 v2, 0xffff, v3
	v_lshl_or_b32 v2, v5, 16, v2
                                        ; implicit-def: $vgpr5
; %bb.29:                               ;   in Loop: Header=BB6_27 Depth=1
	s_andn2_saveexec_b64 s[2:3], s[2:3]
	s_cbranch_execz .LBB6_26
; %bb.30:                               ;   in Loop: Header=BB6_27 Depth=1
	v_and_or_b32 v2, v3, s6, v5
	s_branch .LBB6_26
.LBB6_31:
	s_endpgm
	.section	.rodata,"a",@progbits
	.p2align	6, 0x0
	.amdhsa_kernel _ZN2at6native12_GLOBAL__N_149max_pool3d_with_indices_backward_single_out_frameIN3c104HalfEEEvPT_PKS5_PKliiiiiiiiib
		.amdhsa_group_segment_fixed_size 0
		.amdhsa_private_segment_fixed_size 0
		.amdhsa_kernarg_size 320
		.amdhsa_user_sgpr_count 6
		.amdhsa_user_sgpr_private_segment_buffer 1
		.amdhsa_user_sgpr_dispatch_ptr 0
		.amdhsa_user_sgpr_queue_ptr 0
		.amdhsa_user_sgpr_kernarg_segment_ptr 1
		.amdhsa_user_sgpr_dispatch_id 0
		.amdhsa_user_sgpr_flat_scratch_init 0
		.amdhsa_user_sgpr_private_segment_size 0
		.amdhsa_uses_dynamic_stack 0
		.amdhsa_system_sgpr_private_segment_wavefront_offset 0
		.amdhsa_system_sgpr_workgroup_id_x 1
		.amdhsa_system_sgpr_workgroup_id_y 1
		.amdhsa_system_sgpr_workgroup_id_z 1
		.amdhsa_system_sgpr_workgroup_info 0
		.amdhsa_system_vgpr_workitem_id 2
		.amdhsa_next_free_vgpr 15
		.amdhsa_next_free_sgpr 30
		.amdhsa_reserve_vcc 1
		.amdhsa_reserve_flat_scratch 0
		.amdhsa_float_round_mode_32 0
		.amdhsa_float_round_mode_16_64 0
		.amdhsa_float_denorm_mode_32 3
		.amdhsa_float_denorm_mode_16_64 3
		.amdhsa_dx10_clamp 1
		.amdhsa_ieee_mode 1
		.amdhsa_fp16_overflow 0
		.amdhsa_exception_fp_ieee_invalid_op 0
		.amdhsa_exception_fp_denorm_src 0
		.amdhsa_exception_fp_ieee_div_zero 0
		.amdhsa_exception_fp_ieee_overflow 0
		.amdhsa_exception_fp_ieee_underflow 0
		.amdhsa_exception_fp_ieee_inexact 0
		.amdhsa_exception_int_div_zero 0
	.end_amdhsa_kernel
	.section	.text._ZN2at6native12_GLOBAL__N_149max_pool3d_with_indices_backward_single_out_frameIN3c104HalfEEEvPT_PKS5_PKliiiiiiiiib,"axG",@progbits,_ZN2at6native12_GLOBAL__N_149max_pool3d_with_indices_backward_single_out_frameIN3c104HalfEEEvPT_PKS5_PKliiiiiiiiib,comdat
.Lfunc_end6:
	.size	_ZN2at6native12_GLOBAL__N_149max_pool3d_with_indices_backward_single_out_frameIN3c104HalfEEEvPT_PKS5_PKliiiiiiiiib, .Lfunc_end6-_ZN2at6native12_GLOBAL__N_149max_pool3d_with_indices_backward_single_out_frameIN3c104HalfEEEvPT_PKS5_PKliiiiiiiiib
                                        ; -- End function
	.set _ZN2at6native12_GLOBAL__N_149max_pool3d_with_indices_backward_single_out_frameIN3c104HalfEEEvPT_PKS5_PKliiiiiiiiib.num_vgpr, 15
	.set _ZN2at6native12_GLOBAL__N_149max_pool3d_with_indices_backward_single_out_frameIN3c104HalfEEEvPT_PKS5_PKliiiiiiiiib.num_agpr, 0
	.set _ZN2at6native12_GLOBAL__N_149max_pool3d_with_indices_backward_single_out_frameIN3c104HalfEEEvPT_PKS5_PKliiiiiiiiib.numbered_sgpr, 30
	.set _ZN2at6native12_GLOBAL__N_149max_pool3d_with_indices_backward_single_out_frameIN3c104HalfEEEvPT_PKS5_PKliiiiiiiiib.num_named_barrier, 0
	.set _ZN2at6native12_GLOBAL__N_149max_pool3d_with_indices_backward_single_out_frameIN3c104HalfEEEvPT_PKS5_PKliiiiiiiiib.private_seg_size, 0
	.set _ZN2at6native12_GLOBAL__N_149max_pool3d_with_indices_backward_single_out_frameIN3c104HalfEEEvPT_PKS5_PKliiiiiiiiib.uses_vcc, 1
	.set _ZN2at6native12_GLOBAL__N_149max_pool3d_with_indices_backward_single_out_frameIN3c104HalfEEEvPT_PKS5_PKliiiiiiiiib.uses_flat_scratch, 0
	.set _ZN2at6native12_GLOBAL__N_149max_pool3d_with_indices_backward_single_out_frameIN3c104HalfEEEvPT_PKS5_PKliiiiiiiiib.has_dyn_sized_stack, 0
	.set _ZN2at6native12_GLOBAL__N_149max_pool3d_with_indices_backward_single_out_frameIN3c104HalfEEEvPT_PKS5_PKliiiiiiiiib.has_recursion, 0
	.set _ZN2at6native12_GLOBAL__N_149max_pool3d_with_indices_backward_single_out_frameIN3c104HalfEEEvPT_PKS5_PKliiiiiiiiib.has_indirect_call, 0
	.section	.AMDGPU.csdata,"",@progbits
; Kernel info:
; codeLenInByte = 2160
; TotalNumSgprs: 34
; NumVgprs: 15
; ScratchSize: 0
; MemoryBound: 0
; FloatMode: 240
; IeeeMode: 1
; LDSByteSize: 0 bytes/workgroup (compile time only)
; SGPRBlocks: 4
; VGPRBlocks: 3
; NumSGPRsForWavesPerEU: 34
; NumVGPRsForWavesPerEU: 15
; Occupancy: 10
; WaveLimiterHint : 1
; COMPUTE_PGM_RSRC2:SCRATCH_EN: 0
; COMPUTE_PGM_RSRC2:USER_SGPR: 6
; COMPUTE_PGM_RSRC2:TRAP_HANDLER: 0
; COMPUTE_PGM_RSRC2:TGID_X_EN: 1
; COMPUTE_PGM_RSRC2:TGID_Y_EN: 1
; COMPUTE_PGM_RSRC2:TGID_Z_EN: 1
; COMPUTE_PGM_RSRC2:TIDIG_COMP_CNT: 2
	.section	.text._ZN2at6native12_GLOBAL__N_149max_pool3d_with_indices_backward_single_out_frameIN3c108BFloat16EEEvPT_PKS5_PKliiiiiiiiib,"axG",@progbits,_ZN2at6native12_GLOBAL__N_149max_pool3d_with_indices_backward_single_out_frameIN3c108BFloat16EEEvPT_PKS5_PKliiiiiiiiib,comdat
	.globl	_ZN2at6native12_GLOBAL__N_149max_pool3d_with_indices_backward_single_out_frameIN3c108BFloat16EEEvPT_PKS5_PKliiiiiiiiib ; -- Begin function _ZN2at6native12_GLOBAL__N_149max_pool3d_with_indices_backward_single_out_frameIN3c108BFloat16EEEvPT_PKS5_PKliiiiiiiiib
	.p2align	8
	.type	_ZN2at6native12_GLOBAL__N_149max_pool3d_with_indices_backward_single_out_frameIN3c108BFloat16EEEvPT_PKS5_PKliiiiiiiiib,@function
_ZN2at6native12_GLOBAL__N_149max_pool3d_with_indices_backward_single_out_frameIN3c108BFloat16EEEvPT_PKS5_PKliiiiiiiiib: ; @_ZN2at6native12_GLOBAL__N_149max_pool3d_with_indices_backward_single_out_frameIN3c108BFloat16EEEvPT_PKS5_PKliiiiiiiiib
; %bb.0:
	s_load_dwordx8 s[12:19], s[4:5], 0x18
	s_load_dwordx2 s[22:23], s[4:5], 0x38
	s_load_dwordx2 s[10:11], s[4:5], 0x4c
	s_mov_b64 s[0:1], -1
                                        ; implicit-def: $vgpr6_vgpr7
	s_waitcnt lgkmcnt(0)
	s_mov_b32 s2, s17
	s_bitcmp1_b32 s23, 0
	s_cselect_b64 s[20:21], -1, 0
	s_and_b32 s3, s11, 0xffff
	s_mul_i32 s3, s8, s3
	s_add_i32 s3, s3, s22
	v_add_u32_e32 v8, s3, v2
	s_and_b64 vcc, exec, s[20:21]
                                        ; implicit-def: $vgpr2_vgpr3
	s_cbranch_vccnz .LBB7_2
; %bb.1:
	v_cvt_f32_u32_e32 v2, s17
	s_sub_i32 s0, 0, s17
	v_mov_b32_e32 v7, 0
	v_rcp_iflag_f32_e32 v2, v2
	v_mul_f32_e32 v2, 0x4f7ffffe, v2
	v_cvt_u32_f32_e32 v2, v2
	v_mul_lo_u32 v3, s0, v2
	s_mov_b64 s[0:1], 0
	v_mul_hi_u32 v3, v2, v3
	v_add_u32_e32 v2, v2, v3
	v_mul_hi_u32 v2, v8, v2
	v_mul_lo_u32 v3, v2, s17
	v_add_u32_e32 v4, 1, v2
	v_sub_u32_e32 v3, v8, v3
	v_cmp_le_u32_e32 vcc, s17, v3
	v_cndmask_b32_e32 v2, v2, v4, vcc
	v_subrev_u32_e32 v4, s17, v3
	v_cndmask_b32_e32 v3, v3, v4, vcc
	v_add_u32_e32 v4, 1, v2
	v_cmp_le_u32_e32 vcc, s17, v3
	v_cndmask_b32_e32 v2, v2, v4, vcc
	v_mul_lo_u32 v4, v2, s17
	v_mov_b32_e32 v3, v7
	v_sub_u32_e32 v6, v8, v4
.LBB7_2:
	v_mov_b32_e32 v4, 0
	s_andn2_b64 vcc, exec, s[0:1]
	v_mov_b32_e32 v5, 0
	s_cbranch_vccnz .LBB7_7
; %bb.3:
	v_cvt_f32_u32_e32 v2, s12
	s_sub_i32 s0, 0, s12
	s_ashr_i32 s3, s17, 31
	s_mov_b32 s1, s3
	v_rcp_iflag_f32_e32 v2, v2
	v_mul_f32_e32 v2, 0x4f7ffffe, v2
	v_cvt_u32_f32_e32 v2, v2
	v_mul_lo_u32 v3, s0, v2
	s_mov_b32 s0, 0
	s_cmp_lg_u64 s[0:1], 0
	v_mul_hi_u32 v3, v2, v3
	v_add_u32_e32 v2, v2, v3
	v_mul_hi_u32 v2, v8, v2
	v_mul_lo_u32 v3, v2, s12
	v_add_u32_e32 v4, 1, v2
	v_sub_u32_e32 v3, v8, v3
	v_cmp_le_u32_e32 vcc, s12, v3
	v_cndmask_b32_e32 v2, v2, v4, vcc
	v_subrev_u32_e32 v4, s12, v3
	v_cndmask_b32_e32 v3, v3, v4, vcc
	v_add_u32_e32 v4, 1, v2
	v_cmp_le_u32_e32 vcc, s12, v3
	v_cndmask_b32_e32 v2, v2, v4, vcc
	v_mov_b32_e32 v3, 0
	s_cbranch_scc0 .LBB7_12
; %bb.4:
	s_ashr_i32 s8, s3, 31
	s_add_u32 s0, s2, s8
	s_mov_b32 s9, s8
	s_addc_u32 s1, s3, s8
	s_xor_b64 s[22:23], s[0:1], s[8:9]
	v_cvt_f32_u32_e32 v4, s22
	v_cvt_f32_u32_e32 v5, s23
	s_sub_u32 s9, 0, s22
	s_subb_u32 s11, 0, s23
	v_add_co_u32_e32 v9, vcc, 0, v2
	v_madmk_f32 v4, v5, 0x4f800000, v4
	v_rcp_f32_e32 v4, v4
	v_mul_f32_e32 v4, 0x5f7ffffc, v4
	v_mul_f32_e32 v5, 0x2f800000, v4
	v_trunc_f32_e32 v5, v5
	v_madmk_f32 v4, v5, 0xcf800000, v4
	v_cvt_u32_f32_e32 v5, v5
	v_cvt_u32_f32_e32 v4, v4
	v_readfirstlane_b32 s24, v5
	v_readfirstlane_b32 s0, v4
	s_mul_i32 s1, s9, s24
	s_mul_hi_u32 s26, s9, s0
	s_mul_i32 s25, s11, s0
	s_add_i32 s1, s26, s1
	s_add_i32 s1, s1, s25
	s_mul_i32 s27, s9, s0
	s_mul_i32 s26, s0, s1
	s_mul_hi_u32 s28, s0, s27
	s_mul_hi_u32 s25, s0, s1
	s_add_u32 s26, s28, s26
	s_addc_u32 s25, 0, s25
	s_mul_hi_u32 s29, s24, s27
	s_mul_i32 s27, s24, s27
	s_add_u32 s26, s26, s27
	s_mul_hi_u32 s28, s24, s1
	s_addc_u32 s25, s25, s29
	s_addc_u32 s26, s28, 0
	s_mul_i32 s1, s24, s1
	s_add_u32 s1, s25, s1
	s_addc_u32 s25, 0, s26
	s_add_u32 s26, s0, s1
	s_cselect_b64 s[0:1], -1, 0
	s_cmp_lg_u64 s[0:1], 0
	s_addc_u32 s24, s24, s25
	s_mul_i32 s0, s9, s24
	s_mul_hi_u32 s1, s9, s26
	s_add_i32 s0, s1, s0
	s_mul_i32 s11, s11, s26
	s_add_i32 s0, s0, s11
	s_mul_i32 s9, s9, s26
	s_mul_hi_u32 s11, s24, s9
	s_mul_i32 s25, s24, s9
	s_mul_i32 s28, s26, s0
	s_mul_hi_u32 s9, s26, s9
	s_mul_hi_u32 s27, s26, s0
	s_add_u32 s9, s9, s28
	s_addc_u32 s27, 0, s27
	s_add_u32 s9, s9, s25
	s_mul_hi_u32 s1, s24, s0
	s_addc_u32 s9, s27, s11
	s_addc_u32 s1, s1, 0
	s_mul_i32 s0, s24, s0
	s_add_u32 s0, s9, s0
	s_addc_u32 s9, 0, s1
	s_add_u32 s11, s26, s0
	s_cselect_b64 s[0:1], -1, 0
	s_cmp_lg_u64 s[0:1], 0
	s_addc_u32 s9, s24, s9
	v_mad_u64_u32 v[4:5], s[0:1], v9, s9, 0
	v_mul_hi_u32 v6, v9, s11
	v_addc_co_u32_e64 v10, s[0:1], 0, 0, vcc
	v_add_co_u32_e32 v11, vcc, v6, v4
	v_addc_co_u32_e32 v12, vcc, 0, v5, vcc
	v_mad_u64_u32 v[4:5], s[0:1], v10, s11, 0
	v_mad_u64_u32 v[6:7], s[0:1], v10, s9, 0
	v_add_co_u32_e32 v4, vcc, v11, v4
	v_addc_co_u32_e32 v4, vcc, v12, v5, vcc
	v_addc_co_u32_e32 v5, vcc, 0, v7, vcc
	v_add_co_u32_e32 v6, vcc, v4, v6
	v_addc_co_u32_e32 v7, vcc, 0, v5, vcc
	v_mul_lo_u32 v11, s23, v6
	v_mul_lo_u32 v12, s22, v7
	v_mad_u64_u32 v[4:5], s[0:1], s22, v6, 0
	v_add3_u32 v5, v5, v12, v11
	v_sub_u32_e32 v11, v10, v5
	v_mov_b32_e32 v12, s23
	v_sub_co_u32_e32 v4, vcc, v9, v4
	v_subb_co_u32_e64 v9, s[0:1], v11, v12, vcc
	v_subrev_co_u32_e64 v11, s[0:1], s22, v4
	v_subbrev_co_u32_e64 v9, s[0:1], 0, v9, s[0:1]
	v_cmp_le_u32_e64 s[0:1], s23, v9
	v_cndmask_b32_e64 v12, 0, -1, s[0:1]
	v_cmp_le_u32_e64 s[0:1], s22, v11
	v_cndmask_b32_e64 v11, 0, -1, s[0:1]
	v_cmp_eq_u32_e64 s[0:1], s23, v9
	v_cndmask_b32_e64 v9, v12, v11, s[0:1]
	v_add_co_u32_e64 v11, s[0:1], 2, v6
	v_subb_co_u32_e32 v5, vcc, v10, v5, vcc
	v_addc_co_u32_e64 v12, s[0:1], 0, v7, s[0:1]
	v_cmp_le_u32_e32 vcc, s23, v5
	v_add_co_u32_e64 v13, s[0:1], 1, v6
	v_cndmask_b32_e64 v10, 0, -1, vcc
	v_cmp_le_u32_e32 vcc, s22, v4
	v_addc_co_u32_e64 v14, s[0:1], 0, v7, s[0:1]
	v_cndmask_b32_e64 v4, 0, -1, vcc
	v_cmp_eq_u32_e32 vcc, s23, v5
	v_cmp_ne_u32_e64 s[0:1], 0, v9
	v_cndmask_b32_e32 v4, v10, v4, vcc
	v_cndmask_b32_e64 v9, v14, v12, s[0:1]
	v_cmp_ne_u32_e32 vcc, 0, v4
	v_cndmask_b32_e64 v5, v13, v11, s[0:1]
	v_cndmask_b32_e32 v4, v7, v9, vcc
	v_cndmask_b32_e32 v5, v6, v5, vcc
	v_xor_b32_e32 v6, s8, v4
	v_xor_b32_e32 v4, s8, v5
	v_mov_b32_e32 v5, s8
	v_subrev_co_u32_e32 v4, vcc, s8, v4
	v_subb_co_u32_e32 v5, vcc, v6, v5, vcc
	s_cbranch_execnz .LBB7_6
.LBB7_5:
	v_cvt_f32_u32_e32 v4, s2
	s_sub_i32 s0, 0, s2
	v_rcp_iflag_f32_e32 v4, v4
	v_mul_f32_e32 v4, 0x4f7ffffe, v4
	v_cvt_u32_f32_e32 v4, v4
	v_mul_lo_u32 v5, s0, v4
	v_mul_hi_u32 v5, v4, v5
	v_add_u32_e32 v4, v4, v5
	v_mul_hi_u32 v4, v2, v4
	v_mul_lo_u32 v5, v4, s2
	v_add_u32_e32 v6, 1, v4
	v_sub_u32_e32 v5, v2, v5
	v_subrev_u32_e32 v7, s2, v5
	v_cmp_le_u32_e32 vcc, s2, v5
	v_cndmask_b32_e32 v5, v5, v7, vcc
	v_cndmask_b32_e32 v4, v4, v6, vcc
	v_add_u32_e32 v6, 1, v4
	v_cmp_le_u32_e32 vcc, s2, v5
	v_cndmask_b32_e32 v4, v4, v6, vcc
	v_mov_b32_e32 v5, 0
.LBB7_6:
	v_mul_lo_u32 v10, v5, s2
	v_mul_lo_u32 v11, v4, s3
	v_mad_u64_u32 v[6:7], s[0:1], v4, s2, 0
	v_mul_lo_u32 v9, v2, s12
	v_add3_u32 v7, v7, v11, v10
	v_sub_co_u32_e32 v6, vcc, v2, v6
	v_sub_u32_e32 v5, v8, v9
	v_subb_co_u32_e32 v7, vcc, 0, v7, vcc
.LBB7_7:
	s_lshr_b32 s0, s10, 16
	s_mul_i32 s7, s7, s0
	v_add_u32_e32 v8, s7, v1
	v_mov_b32_e32 v9, 0
	s_ashr_i32 s9, s18, 31
	s_mov_b32 s8, s18
	v_cmp_gt_i64_e32 vcc, s[8:9], v[8:9]
	s_xor_b64 s[20:21], s[20:21], -1
	s_and_saveexec_b64 s[0:1], vcc
	s_cbranch_execz .LBB7_23
; %bb.8:
	s_and_b32 s0, s10, 0xffff
	s_mul_i32 s6, s6, s0
	v_add_u32_e32 v0, s6, v0
	v_mov_b32_e32 v1, v9
	s_ashr_i32 s7, s19, 31
	s_mov_b32 s6, s19
	v_cmp_gt_i64_e32 vcc, s[6:7], v[0:1]
	s_and_b64 exec, exec, vcc
	s_cbranch_execz .LBB7_23
; %bb.9:
	s_ashr_i32 s3, s17, 31
	v_cmp_gt_i64_e32 vcc, s[2:3], v[6:7]
	v_cmp_gt_i32_e64 s[0:1], s16, v4
	s_and_b64 s[0:1], vcc, s[0:1]
	v_cmp_gt_i32_e32 vcc, s12, v5
	s_and_b64 s[0:1], vcc, s[0:1]
	s_and_b64 exec, exec, s[0:1]
	s_cbranch_execz .LBB7_23
; %bb.10:
	v_cndmask_b32_e64 v10, 0, 1, s[20:21]
	v_cmp_ne_u32_e64 s[0:1], 1, v10
	s_andn2_b64 vcc, exec, s[20:21]
	s_cbranch_vccnz .LBB7_13
; %bb.11:
	v_mad_u64_u32 v[10:11], s[10:11], v2, s2, v[6:7]
	v_mul_lo_u32 v12, v2, s3
	v_mul_lo_u32 v13, v3, s2
	v_add3_u32 v12, v13, v11, v12
	v_mul_lo_u32 v13, v10, s9
	v_mad_u64_u32 v[10:11], s[10:11], v10, s8, v[8:9]
	v_mul_lo_u32 v12, v12, s8
	v_add3_u32 v12, v12, v11, v13
	v_mul_lo_u32 v13, v10, s7
	v_mad_u64_u32 v[10:11], s[10:11], v10, s6, v[0:1]
	v_mul_lo_u32 v12, v12, s6
	v_add3_u32 v11, v12, v11, v13
	s_cbranch_execz .LBB7_14
	s_branch .LBB7_15
.LBB7_12:
                                        ; implicit-def: $vgpr4_vgpr5
	s_branch .LBB7_5
.LBB7_13:
                                        ; implicit-def: $vgpr10_vgpr11
.LBB7_14:
	v_mad_i64_i32 v[6:7], s[2:3], v4, s2, v[6:7]
	v_mul_lo_u32 v10, v6, s9
	v_mul_lo_u32 v11, v7, s8
	v_mad_u64_u32 v[6:7], s[2:3], v6, s8, v[8:9]
	v_add3_u32 v7, v11, v7, v10
	v_mul_lo_u32 v8, v6, s7
	v_mad_u64_u32 v[0:1], s[2:3], v6, s6, v[0:1]
	v_mul_lo_u32 v7, v7, s6
	s_ashr_i32 s2, s12, 31
	v_ashrrev_i32_e32 v6, 31, v5
	v_add3_u32 v1, v7, v1, v8
	v_mul_lo_u32 v1, v1, s12
	v_mul_lo_u32 v7, v0, s2
	v_mad_u64_u32 v[10:11], s[2:3], v0, s12, v[5:6]
	v_add3_u32 v11, v1, v11, v7
.LBB7_15:
	s_load_dwordx2 s[2:3], s[4:5], 0x10
	v_lshlrev_b64 v[0:1], 3, v[10:11]
	s_waitcnt lgkmcnt(0)
	v_mov_b32_e32 v6, s3
	v_add_co_u32_e32 v0, vcc, s2, v0
	v_addc_co_u32_e32 v1, vcc, v6, v1, vcc
	global_load_dwordx2 v[6:7], v[0:1], off
	s_mov_b64 s[2:3], -1
	s_waitcnt vmcnt(0)
	v_cmp_ne_u64_e32 vcc, -1, v[6:7]
	s_and_b64 exec, exec, vcc
	s_cbranch_execz .LBB7_23
; %bb.16:
	s_load_dwordx4 s[4:7], s[4:5], 0x0
	s_mul_hi_i32 s10, s14, s13
	s_mul_i32 s8, s14, s13
	v_lshlrev_b64 v[0:1], 1, v[10:11]
	s_and_b64 vcc, exec, s[0:1]
	s_mul_hi_u32 s9, s8, s15
	s_mul_i32 s10, s10, s15
	s_mul_i32 s11, s8, s15
	s_cbranch_vccnz .LBB7_20
; %bb.17:
	s_ashr_i32 s0, s15, 31
	s_mul_i32 s0, s8, s0
	s_add_i32 s0, s9, s0
	s_add_i32 s2, s0, s10
	v_mul_lo_u32 v3, s11, v3
	v_mad_u64_u32 v[8:9], s[0:1], s11, v2, 0
	v_mul_lo_u32 v2, s2, v2
	s_mov_b64 s[2:3], 0
	s_movk_i32 s13, 0x7fff
	s_mov_b32 s14, 0xffff0000
	v_add3_u32 v9, v9, v3, v2
	v_lshlrev_b64 v[2:3], 1, v[8:9]
	s_waitcnt lgkmcnt(0)
	v_mov_b32_e32 v8, s5
	v_add_co_u32_e32 v9, vcc, s4, v2
	v_addc_co_u32_e32 v8, vcc, v8, v3, vcc
	v_lshlrev_b64 v[2:3], 1, v[6:7]
	v_add_co_u32_e32 v9, vcc, v9, v2
	v_addc_co_u32_e32 v8, vcc, v8, v3, vcc
	v_mov_b32_e32 v3, s7
	v_add_co_u32_e32 v2, vcc, s6, v0
	v_addc_co_u32_e32 v3, vcc, v3, v1, vcc
	v_and_b32_e32 v10, 2, v9
	v_sub_co_u32_e32 v11, vcc, 0, v10
	v_subb_co_u32_e64 v12, s[0:1], 0, 0, vcc
	global_load_ushort v13, v[2:3], off
	v_add_co_u32_e32 v2, vcc, v9, v11
	v_addc_co_u32_e32 v3, vcc, v8, v12, vcc
	global_load_dword v9, v[2:3], off
	v_mov_b32_e32 v11, 0
	v_cmp_eq_u64_e64 s[0:1], 0, v[10:11]
	v_mov_b32_e32 v11, 0x7fc0
	s_waitcnt vmcnt(1)
	v_lshlrev_b32_e32 v10, 16, v13
.LBB7_18:                               ; =>This Inner Loop Header: Depth=1
	s_mov_b64 vcc, s[0:1]
	s_waitcnt vmcnt(0)
	v_and_b32_e32 v8, 0xffff, v9
	v_cndmask_b32_sdwa v12, v9, v8, vcc dst_sel:WORD_1 dst_unused:UNUSED_PAD src0_sel:WORD_1 src1_sel:DWORD
	v_add_f32_e32 v12, v10, v12
	v_bfe_u32 v13, v12, 16, 1
	v_cmp_o_f32_e32 vcc, v12, v12
	v_add3_u32 v12, v12, v13, s13
	v_cndmask_b32_sdwa v12, v11, v12, vcc dst_sel:DWORD dst_unused:UNUSED_PAD src0_sel:DWORD src1_sel:WORD_1
	v_lshl_or_b32 v8, v12, 16, v8
	v_and_or_b32 v12, v9, s14, v12
	v_cndmask_b32_e64 v8, v8, v12, s[0:1]
	global_atomic_cmpswap v8, v[2:3], v[8:9], off glc
	s_waitcnt vmcnt(0)
	v_cmp_eq_u32_e32 vcc, v9, v8
	s_or_b64 s[2:3], vcc, s[2:3]
	v_mov_b32_e32 v9, v8
	s_andn2_b64 exec, exec, s[2:3]
	s_cbranch_execnz .LBB7_18
; %bb.19:
	s_or_b64 exec, exec, s[2:3]
	s_mov_b64 s[2:3], 0
.LBB7_20:
	s_and_b64 vcc, exec, s[2:3]
	s_cbranch_vccz .LBB7_23
; %bb.21:
	s_ashr_i32 s0, s15, 31
	s_mul_i32 s8, s8, s0
	s_add_i32 s0, s9, s8
	v_ashrrev_i32_e32 v2, 31, v4
	s_add_i32 s0, s0, s10
	v_mul_lo_u32 v8, s11, v2
	v_mul_lo_u32 v9, s0, v4
	v_mad_u64_u32 v[2:3], s[0:1], s11, v4, v[6:7]
	s_ashr_i32 s0, s12, 31
	s_mov_b64 s[2:3], 0
	v_add3_u32 v3, v9, v3, v8
	v_mul_lo_u32 v4, v3, s12
	v_mul_lo_u32 v6, v2, s0
	v_mad_u64_u32 v[2:3], s[0:1], v2, s12, 0
	v_add3_u32 v3, v3, v6, v4
	v_lshlrev_b64 v[2:3], 1, v[2:3]
	v_ashrrev_i32_e32 v6, 31, v5
	s_waitcnt lgkmcnt(0)
	v_mov_b32_e32 v4, s5
	v_add_co_u32_e32 v7, vcc, s4, v2
	v_addc_co_u32_e32 v4, vcc, v4, v3, vcc
	v_lshlrev_b64 v[2:3], 1, v[5:6]
	s_movk_i32 s4, 0x7fff
	v_add_co_u32_e32 v2, vcc, v7, v2
	v_addc_co_u32_e32 v3, vcc, v4, v3, vcc
	v_mov_b32_e32 v4, s7
	v_add_co_u32_e32 v0, vcc, s6, v0
	v_addc_co_u32_e32 v1, vcc, v4, v1, vcc
	v_and_b32_e32 v4, 2, v2
	v_sub_co_u32_e32 v5, vcc, 0, v4
	v_subb_co_u32_e64 v6, s[0:1], 0, 0, vcc
	global_load_ushort v7, v[0:1], off
	v_add_co_u32_e32 v0, vcc, v2, v5
	v_addc_co_u32_e32 v1, vcc, v3, v6, vcc
	global_load_dword v3, v[0:1], off
	v_mov_b32_e32 v5, 0
	v_cmp_eq_u64_e64 s[0:1], 0, v[4:5]
	s_mov_b32 s5, 0xffff0000
	v_mov_b32_e32 v5, 0x7fc0
	s_waitcnt vmcnt(1)
	v_lshlrev_b32_e32 v4, 16, v7
.LBB7_22:                               ; =>This Inner Loop Header: Depth=1
	s_mov_b64 vcc, s[0:1]
	s_waitcnt vmcnt(0)
	v_and_b32_e32 v2, 0xffff, v3
	v_cndmask_b32_sdwa v6, v3, v2, vcc dst_sel:WORD_1 dst_unused:UNUSED_PAD src0_sel:WORD_1 src1_sel:DWORD
	v_add_f32_e32 v6, v4, v6
	v_bfe_u32 v7, v6, 16, 1
	v_cmp_o_f32_e32 vcc, v6, v6
	v_add3_u32 v6, v6, v7, s4
	v_cndmask_b32_sdwa v6, v5, v6, vcc dst_sel:DWORD dst_unused:UNUSED_PAD src0_sel:DWORD src1_sel:WORD_1
	v_lshl_or_b32 v2, v6, 16, v2
	v_and_or_b32 v6, v3, s5, v6
	v_cndmask_b32_e64 v2, v2, v6, s[0:1]
	global_atomic_cmpswap v2, v[0:1], v[2:3], off glc
	s_waitcnt vmcnt(0)
	v_cmp_eq_u32_e32 vcc, v3, v2
	s_or_b64 s[2:3], vcc, s[2:3]
	v_mov_b32_e32 v3, v2
	s_andn2_b64 exec, exec, s[2:3]
	s_cbranch_execnz .LBB7_22
.LBB7_23:
	s_endpgm
	.section	.rodata,"a",@progbits
	.p2align	6, 0x0
	.amdhsa_kernel _ZN2at6native12_GLOBAL__N_149max_pool3d_with_indices_backward_single_out_frameIN3c108BFloat16EEEvPT_PKS5_PKliiiiiiiiib
		.amdhsa_group_segment_fixed_size 0
		.amdhsa_private_segment_fixed_size 0
		.amdhsa_kernarg_size 320
		.amdhsa_user_sgpr_count 6
		.amdhsa_user_sgpr_private_segment_buffer 1
		.amdhsa_user_sgpr_dispatch_ptr 0
		.amdhsa_user_sgpr_queue_ptr 0
		.amdhsa_user_sgpr_kernarg_segment_ptr 1
		.amdhsa_user_sgpr_dispatch_id 0
		.amdhsa_user_sgpr_flat_scratch_init 0
		.amdhsa_user_sgpr_private_segment_size 0
		.amdhsa_uses_dynamic_stack 0
		.amdhsa_system_sgpr_private_segment_wavefront_offset 0
		.amdhsa_system_sgpr_workgroup_id_x 1
		.amdhsa_system_sgpr_workgroup_id_y 1
		.amdhsa_system_sgpr_workgroup_id_z 1
		.amdhsa_system_sgpr_workgroup_info 0
		.amdhsa_system_vgpr_workitem_id 2
		.amdhsa_next_free_vgpr 15
		.amdhsa_next_free_sgpr 30
		.amdhsa_reserve_vcc 1
		.amdhsa_reserve_flat_scratch 0
		.amdhsa_float_round_mode_32 0
		.amdhsa_float_round_mode_16_64 0
		.amdhsa_float_denorm_mode_32 3
		.amdhsa_float_denorm_mode_16_64 3
		.amdhsa_dx10_clamp 1
		.amdhsa_ieee_mode 1
		.amdhsa_fp16_overflow 0
		.amdhsa_exception_fp_ieee_invalid_op 0
		.amdhsa_exception_fp_denorm_src 0
		.amdhsa_exception_fp_ieee_div_zero 0
		.amdhsa_exception_fp_ieee_overflow 0
		.amdhsa_exception_fp_ieee_underflow 0
		.amdhsa_exception_fp_ieee_inexact 0
		.amdhsa_exception_int_div_zero 0
	.end_amdhsa_kernel
	.section	.text._ZN2at6native12_GLOBAL__N_149max_pool3d_with_indices_backward_single_out_frameIN3c108BFloat16EEEvPT_PKS5_PKliiiiiiiiib,"axG",@progbits,_ZN2at6native12_GLOBAL__N_149max_pool3d_with_indices_backward_single_out_frameIN3c108BFloat16EEEvPT_PKS5_PKliiiiiiiiib,comdat
.Lfunc_end7:
	.size	_ZN2at6native12_GLOBAL__N_149max_pool3d_with_indices_backward_single_out_frameIN3c108BFloat16EEEvPT_PKS5_PKliiiiiiiiib, .Lfunc_end7-_ZN2at6native12_GLOBAL__N_149max_pool3d_with_indices_backward_single_out_frameIN3c108BFloat16EEEvPT_PKS5_PKliiiiiiiiib
                                        ; -- End function
	.set _ZN2at6native12_GLOBAL__N_149max_pool3d_with_indices_backward_single_out_frameIN3c108BFloat16EEEvPT_PKS5_PKliiiiiiiiib.num_vgpr, 15
	.set _ZN2at6native12_GLOBAL__N_149max_pool3d_with_indices_backward_single_out_frameIN3c108BFloat16EEEvPT_PKS5_PKliiiiiiiiib.num_agpr, 0
	.set _ZN2at6native12_GLOBAL__N_149max_pool3d_with_indices_backward_single_out_frameIN3c108BFloat16EEEvPT_PKS5_PKliiiiiiiiib.numbered_sgpr, 30
	.set _ZN2at6native12_GLOBAL__N_149max_pool3d_with_indices_backward_single_out_frameIN3c108BFloat16EEEvPT_PKS5_PKliiiiiiiiib.num_named_barrier, 0
	.set _ZN2at6native12_GLOBAL__N_149max_pool3d_with_indices_backward_single_out_frameIN3c108BFloat16EEEvPT_PKS5_PKliiiiiiiiib.private_seg_size, 0
	.set _ZN2at6native12_GLOBAL__N_149max_pool3d_with_indices_backward_single_out_frameIN3c108BFloat16EEEvPT_PKS5_PKliiiiiiiiib.uses_vcc, 1
	.set _ZN2at6native12_GLOBAL__N_149max_pool3d_with_indices_backward_single_out_frameIN3c108BFloat16EEEvPT_PKS5_PKliiiiiiiiib.uses_flat_scratch, 0
	.set _ZN2at6native12_GLOBAL__N_149max_pool3d_with_indices_backward_single_out_frameIN3c108BFloat16EEEvPT_PKS5_PKliiiiiiiiib.has_dyn_sized_stack, 0
	.set _ZN2at6native12_GLOBAL__N_149max_pool3d_with_indices_backward_single_out_frameIN3c108BFloat16EEEvPT_PKS5_PKliiiiiiiiib.has_recursion, 0
	.set _ZN2at6native12_GLOBAL__N_149max_pool3d_with_indices_backward_single_out_frameIN3c108BFloat16EEEvPT_PKS5_PKliiiiiiiiib.has_indirect_call, 0
	.section	.AMDGPU.csdata,"",@progbits
; Kernel info:
; codeLenInByte = 2208
; TotalNumSgprs: 34
; NumVgprs: 15
; ScratchSize: 0
; MemoryBound: 0
; FloatMode: 240
; IeeeMode: 1
; LDSByteSize: 0 bytes/workgroup (compile time only)
; SGPRBlocks: 4
; VGPRBlocks: 3
; NumSGPRsForWavesPerEU: 34
; NumVGPRsForWavesPerEU: 15
; Occupancy: 10
; WaveLimiterHint : 1
; COMPUTE_PGM_RSRC2:SCRATCH_EN: 0
; COMPUTE_PGM_RSRC2:USER_SGPR: 6
; COMPUTE_PGM_RSRC2:TRAP_HANDLER: 0
; COMPUTE_PGM_RSRC2:TGID_X_EN: 1
; COMPUTE_PGM_RSRC2:TGID_Y_EN: 1
; COMPUTE_PGM_RSRC2:TGID_Z_EN: 1
; COMPUTE_PGM_RSRC2:TIDIG_COMP_CNT: 2
	.section	.AMDGPU.gpr_maximums,"",@progbits
	.set amdgpu.max_num_vgpr, 0
	.set amdgpu.max_num_agpr, 0
	.set amdgpu.max_num_sgpr, 0
	.section	.AMDGPU.csdata,"",@progbits
	.type	__hip_cuid_3ba6f9194a1fbf6f,@object ; @__hip_cuid_3ba6f9194a1fbf6f
	.section	.bss,"aw",@nobits
	.globl	__hip_cuid_3ba6f9194a1fbf6f
__hip_cuid_3ba6f9194a1fbf6f:
	.byte	0                               ; 0x0
	.size	__hip_cuid_3ba6f9194a1fbf6f, 1

	.ident	"AMD clang version 22.0.0git (https://github.com/RadeonOpenCompute/llvm-project roc-7.2.4 26084 f58b06dce1f9c15707c5f808fd002e18c2accf7e)"
	.section	".note.GNU-stack","",@progbits
	.addrsig
	.addrsig_sym __hip_cuid_3ba6f9194a1fbf6f
	.amdgpu_metadata
---
amdhsa.kernels:
  - .args:
      - .address_space:  global
        .offset:         0
        .size:           8
        .value_kind:     global_buffer
      - .address_space:  global
        .offset:         8
        .size:           8
        .value_kind:     global_buffer
      - .address_space:  global
        .offset:         16
        .size:           8
        .value_kind:     global_buffer
      - .offset:         24
        .size:           4
        .value_kind:     by_value
      - .offset:         28
        .size:           4
        .value_kind:     by_value
      - .offset:         32
        .size:           4
        .value_kind:     by_value
      - .offset:         36
        .size:           4
        .value_kind:     by_value
      - .offset:         40
        .size:           4
        .value_kind:     by_value
      - .offset:         44
        .size:           4
        .value_kind:     by_value
      - .offset:         48
        .size:           4
        .value_kind:     by_value
      - .offset:         52
        .size:           4
        .value_kind:     by_value
      - .offset:         56
        .size:           4
        .value_kind:     by_value
      - .offset:         60
        .size:           4
        .value_kind:     by_value
      - .offset:         64
        .size:           4
        .value_kind:     by_value
      - .offset:         68
        .size:           4
        .value_kind:     by_value
      - .offset:         72
        .size:           4
        .value_kind:     by_value
      - .offset:         76
        .size:           4
        .value_kind:     by_value
      - .offset:         80
        .size:           4
        .value_kind:     by_value
      - .offset:         84
        .size:           4
        .value_kind:     by_value
      - .offset:         88
        .size:           4
        .value_kind:     by_value
      - .offset:         92
        .size:           4
        .value_kind:     by_value
      - .offset:         96
        .size:           4
        .value_kind:     by_value
      - .offset:         100
        .size:           4
        .value_kind:     by_value
      - .offset:         104
        .size:           4
        .value_kind:     by_value
      - .offset:         108
        .size:           1
        .value_kind:     by_value
      - .offset:         112
        .size:           4
        .value_kind:     hidden_block_count_x
      - .offset:         116
        .size:           4
        .value_kind:     hidden_block_count_y
      - .offset:         120
        .size:           4
        .value_kind:     hidden_block_count_z
      - .offset:         124
        .size:           2
        .value_kind:     hidden_group_size_x
      - .offset:         126
        .size:           2
        .value_kind:     hidden_group_size_y
      - .offset:         128
        .size:           2
        .value_kind:     hidden_group_size_z
      - .offset:         130
        .size:           2
        .value_kind:     hidden_remainder_x
      - .offset:         132
        .size:           2
        .value_kind:     hidden_remainder_y
      - .offset:         134
        .size:           2
        .value_kind:     hidden_remainder_z
      - .offset:         152
        .size:           8
        .value_kind:     hidden_global_offset_x
      - .offset:         160
        .size:           8
        .value_kind:     hidden_global_offset_y
      - .offset:         168
        .size:           8
        .value_kind:     hidden_global_offset_z
      - .offset:         176
        .size:           2
        .value_kind:     hidden_grid_dims
    .group_segment_fixed_size: 0
    .kernarg_segment_align: 8
    .kernarg_segment_size: 368
    .language:       OpenCL C
    .language_version:
      - 2
      - 0
    .max_flat_workgroup_size: 1024
    .name:           _ZN2at6native12_GLOBAL__N_140max_pool3d_with_indices_single_out_frameIdEEvPKT_PS3_Pliiiiiiiiiiiiiiiiiiiiib
    .private_segment_fixed_size: 0
    .sgpr_count:     48
    .sgpr_spill_count: 0
    .symbol:         _ZN2at6native12_GLOBAL__N_140max_pool3d_with_indices_single_out_frameIdEEvPKT_PS3_Pliiiiiiiiiiiiiiiiiiiiib.kd
    .uniform_work_group_size: 1
    .uses_dynamic_stack: false
    .vgpr_count:     35
    .vgpr_spill_count: 0
    .wavefront_size: 64
  - .args:
      - .address_space:  global
        .offset:         0
        .size:           8
        .value_kind:     global_buffer
      - .address_space:  global
        .offset:         8
        .size:           8
        .value_kind:     global_buffer
      - .address_space:  global
        .offset:         16
        .size:           8
        .value_kind:     global_buffer
      - .offset:         24
        .size:           4
        .value_kind:     by_value
      - .offset:         28
        .size:           4
        .value_kind:     by_value
      - .offset:         32
        .size:           4
        .value_kind:     by_value
      - .offset:         36
        .size:           4
        .value_kind:     by_value
      - .offset:         40
        .size:           4
        .value_kind:     by_value
      - .offset:         44
        .size:           4
        .value_kind:     by_value
      - .offset:         48
        .size:           4
        .value_kind:     by_value
      - .offset:         52
        .size:           4
        .value_kind:     by_value
      - .offset:         56
        .size:           4
        .value_kind:     by_value
      - .offset:         60
        .size:           4
        .value_kind:     by_value
      - .offset:         64
        .size:           4
        .value_kind:     by_value
      - .offset:         68
        .size:           4
        .value_kind:     by_value
      - .offset:         72
        .size:           4
        .value_kind:     by_value
      - .offset:         76
        .size:           4
        .value_kind:     by_value
      - .offset:         80
        .size:           4
        .value_kind:     by_value
      - .offset:         84
        .size:           4
        .value_kind:     by_value
      - .offset:         88
        .size:           4
        .value_kind:     by_value
      - .offset:         92
        .size:           4
        .value_kind:     by_value
      - .offset:         96
        .size:           4
        .value_kind:     by_value
      - .offset:         100
        .size:           4
        .value_kind:     by_value
      - .offset:         104
        .size:           4
        .value_kind:     by_value
      - .offset:         108
        .size:           1
        .value_kind:     by_value
      - .offset:         112
        .size:           4
        .value_kind:     hidden_block_count_x
      - .offset:         116
        .size:           4
        .value_kind:     hidden_block_count_y
      - .offset:         120
        .size:           4
        .value_kind:     hidden_block_count_z
      - .offset:         124
        .size:           2
        .value_kind:     hidden_group_size_x
      - .offset:         126
        .size:           2
        .value_kind:     hidden_group_size_y
      - .offset:         128
        .size:           2
        .value_kind:     hidden_group_size_z
      - .offset:         130
        .size:           2
        .value_kind:     hidden_remainder_x
      - .offset:         132
        .size:           2
        .value_kind:     hidden_remainder_y
      - .offset:         134
        .size:           2
        .value_kind:     hidden_remainder_z
      - .offset:         152
        .size:           8
        .value_kind:     hidden_global_offset_x
      - .offset:         160
        .size:           8
        .value_kind:     hidden_global_offset_y
      - .offset:         168
        .size:           8
        .value_kind:     hidden_global_offset_z
      - .offset:         176
        .size:           2
        .value_kind:     hidden_grid_dims
    .group_segment_fixed_size: 0
    .kernarg_segment_align: 8
    .kernarg_segment_size: 368
    .language:       OpenCL C
    .language_version:
      - 2
      - 0
    .max_flat_workgroup_size: 1024
    .name:           _ZN2at6native12_GLOBAL__N_140max_pool3d_with_indices_single_out_frameIfEEvPKT_PS3_Pliiiiiiiiiiiiiiiiiiiiib
    .private_segment_fixed_size: 0
    .sgpr_count:     48
    .sgpr_spill_count: 0
    .symbol:         _ZN2at6native12_GLOBAL__N_140max_pool3d_with_indices_single_out_frameIfEEvPKT_PS3_Pliiiiiiiiiiiiiiiiiiiiib.kd
    .uniform_work_group_size: 1
    .uses_dynamic_stack: false
    .vgpr_count:     34
    .vgpr_spill_count: 0
    .wavefront_size: 64
  - .args:
      - .address_space:  global
        .offset:         0
        .size:           8
        .value_kind:     global_buffer
      - .address_space:  global
        .offset:         8
        .size:           8
        .value_kind:     global_buffer
      - .address_space:  global
        .offset:         16
        .size:           8
        .value_kind:     global_buffer
      - .offset:         24
        .size:           4
        .value_kind:     by_value
      - .offset:         28
        .size:           4
        .value_kind:     by_value
      - .offset:         32
        .size:           4
        .value_kind:     by_value
      - .offset:         36
        .size:           4
        .value_kind:     by_value
      - .offset:         40
        .size:           4
        .value_kind:     by_value
      - .offset:         44
        .size:           4
        .value_kind:     by_value
      - .offset:         48
        .size:           4
        .value_kind:     by_value
      - .offset:         52
        .size:           4
        .value_kind:     by_value
      - .offset:         56
        .size:           4
        .value_kind:     by_value
      - .offset:         60
        .size:           4
        .value_kind:     by_value
      - .offset:         64
        .size:           4
        .value_kind:     by_value
      - .offset:         68
        .size:           4
        .value_kind:     by_value
      - .offset:         72
        .size:           4
        .value_kind:     by_value
      - .offset:         76
        .size:           4
        .value_kind:     by_value
      - .offset:         80
        .size:           4
        .value_kind:     by_value
      - .offset:         84
        .size:           4
        .value_kind:     by_value
      - .offset:         88
        .size:           4
        .value_kind:     by_value
      - .offset:         92
        .size:           4
        .value_kind:     by_value
      - .offset:         96
        .size:           4
        .value_kind:     by_value
      - .offset:         100
        .size:           4
        .value_kind:     by_value
      - .offset:         104
        .size:           4
        .value_kind:     by_value
      - .offset:         108
        .size:           1
        .value_kind:     by_value
      - .offset:         112
        .size:           4
        .value_kind:     hidden_block_count_x
      - .offset:         116
        .size:           4
        .value_kind:     hidden_block_count_y
      - .offset:         120
        .size:           4
        .value_kind:     hidden_block_count_z
      - .offset:         124
        .size:           2
        .value_kind:     hidden_group_size_x
      - .offset:         126
        .size:           2
        .value_kind:     hidden_group_size_y
      - .offset:         128
        .size:           2
        .value_kind:     hidden_group_size_z
      - .offset:         130
        .size:           2
        .value_kind:     hidden_remainder_x
      - .offset:         132
        .size:           2
        .value_kind:     hidden_remainder_y
      - .offset:         134
        .size:           2
        .value_kind:     hidden_remainder_z
      - .offset:         152
        .size:           8
        .value_kind:     hidden_global_offset_x
      - .offset:         160
        .size:           8
        .value_kind:     hidden_global_offset_y
      - .offset:         168
        .size:           8
        .value_kind:     hidden_global_offset_z
      - .offset:         176
        .size:           2
        .value_kind:     hidden_grid_dims
    .group_segment_fixed_size: 0
    .kernarg_segment_align: 8
    .kernarg_segment_size: 368
    .language:       OpenCL C
    .language_version:
      - 2
      - 0
    .max_flat_workgroup_size: 1024
    .name:           _ZN2at6native12_GLOBAL__N_140max_pool3d_with_indices_single_out_frameIN3c104HalfEEEvPKT_PS5_Pliiiiiiiiiiiiiiiiiiiiib
    .private_segment_fixed_size: 0
    .sgpr_count:     48
    .sgpr_spill_count: 0
    .symbol:         _ZN2at6native12_GLOBAL__N_140max_pool3d_with_indices_single_out_frameIN3c104HalfEEEvPKT_PS5_Pliiiiiiiiiiiiiiiiiiiiib.kd
    .uniform_work_group_size: 1
    .uses_dynamic_stack: false
    .vgpr_count:     34
    .vgpr_spill_count: 0
    .wavefront_size: 64
  - .args:
      - .address_space:  global
        .offset:         0
        .size:           8
        .value_kind:     global_buffer
      - .address_space:  global
        .offset:         8
        .size:           8
        .value_kind:     global_buffer
      - .address_space:  global
        .offset:         16
        .size:           8
        .value_kind:     global_buffer
      - .offset:         24
        .size:           4
        .value_kind:     by_value
      - .offset:         28
        .size:           4
        .value_kind:     by_value
      - .offset:         32
        .size:           4
        .value_kind:     by_value
      - .offset:         36
        .size:           4
        .value_kind:     by_value
      - .offset:         40
        .size:           4
        .value_kind:     by_value
      - .offset:         44
        .size:           4
        .value_kind:     by_value
      - .offset:         48
        .size:           4
        .value_kind:     by_value
      - .offset:         52
        .size:           4
        .value_kind:     by_value
      - .offset:         56
        .size:           4
        .value_kind:     by_value
      - .offset:         60
        .size:           4
        .value_kind:     by_value
      - .offset:         64
        .size:           4
        .value_kind:     by_value
      - .offset:         68
        .size:           4
        .value_kind:     by_value
      - .offset:         72
        .size:           4
        .value_kind:     by_value
      - .offset:         76
        .size:           4
        .value_kind:     by_value
      - .offset:         80
        .size:           4
        .value_kind:     by_value
      - .offset:         84
        .size:           4
        .value_kind:     by_value
      - .offset:         88
        .size:           4
        .value_kind:     by_value
      - .offset:         92
        .size:           4
        .value_kind:     by_value
      - .offset:         96
        .size:           4
        .value_kind:     by_value
      - .offset:         100
        .size:           4
        .value_kind:     by_value
      - .offset:         104
        .size:           4
        .value_kind:     by_value
      - .offset:         108
        .size:           1
        .value_kind:     by_value
      - .offset:         112
        .size:           4
        .value_kind:     hidden_block_count_x
      - .offset:         116
        .size:           4
        .value_kind:     hidden_block_count_y
      - .offset:         120
        .size:           4
        .value_kind:     hidden_block_count_z
      - .offset:         124
        .size:           2
        .value_kind:     hidden_group_size_x
      - .offset:         126
        .size:           2
        .value_kind:     hidden_group_size_y
      - .offset:         128
        .size:           2
        .value_kind:     hidden_group_size_z
      - .offset:         130
        .size:           2
        .value_kind:     hidden_remainder_x
      - .offset:         132
        .size:           2
        .value_kind:     hidden_remainder_y
      - .offset:         134
        .size:           2
        .value_kind:     hidden_remainder_z
      - .offset:         152
        .size:           8
        .value_kind:     hidden_global_offset_x
      - .offset:         160
        .size:           8
        .value_kind:     hidden_global_offset_y
      - .offset:         168
        .size:           8
        .value_kind:     hidden_global_offset_z
      - .offset:         176
        .size:           2
        .value_kind:     hidden_grid_dims
    .group_segment_fixed_size: 0
    .kernarg_segment_align: 8
    .kernarg_segment_size: 368
    .language:       OpenCL C
    .language_version:
      - 2
      - 0
    .max_flat_workgroup_size: 1024
    .name:           _ZN2at6native12_GLOBAL__N_140max_pool3d_with_indices_single_out_frameIN3c108BFloat16EEEvPKT_PS5_Pliiiiiiiiiiiiiiiiiiiiib
    .private_segment_fixed_size: 0
    .sgpr_count:     48
    .sgpr_spill_count: 0
    .symbol:         _ZN2at6native12_GLOBAL__N_140max_pool3d_with_indices_single_out_frameIN3c108BFloat16EEEvPKT_PS5_Pliiiiiiiiiiiiiiiiiiiiib.kd
    .uniform_work_group_size: 1
    .uses_dynamic_stack: false
    .vgpr_count:     35
    .vgpr_spill_count: 0
    .wavefront_size: 64
  - .args:
      - .address_space:  global
        .offset:         0
        .size:           8
        .value_kind:     global_buffer
      - .address_space:  global
        .offset:         8
        .size:           8
        .value_kind:     global_buffer
      - .address_space:  global
        .offset:         16
        .size:           8
        .value_kind:     global_buffer
      - .offset:         24
        .size:           4
        .value_kind:     by_value
      - .offset:         28
        .size:           4
        .value_kind:     by_value
      - .offset:         32
        .size:           4
        .value_kind:     by_value
      - .offset:         36
        .size:           4
        .value_kind:     by_value
      - .offset:         40
        .size:           4
        .value_kind:     by_value
      - .offset:         44
        .size:           4
        .value_kind:     by_value
      - .offset:         48
        .size:           4
        .value_kind:     by_value
      - .offset:         52
        .size:           4
        .value_kind:     by_value
      - .offset:         56
        .size:           4
        .value_kind:     by_value
      - .offset:         60
        .size:           1
        .value_kind:     by_value
      - .offset:         64
        .size:           4
        .value_kind:     hidden_block_count_x
      - .offset:         68
        .size:           4
        .value_kind:     hidden_block_count_y
      - .offset:         72
        .size:           4
        .value_kind:     hidden_block_count_z
      - .offset:         76
        .size:           2
        .value_kind:     hidden_group_size_x
      - .offset:         78
        .size:           2
        .value_kind:     hidden_group_size_y
      - .offset:         80
        .size:           2
        .value_kind:     hidden_group_size_z
      - .offset:         82
        .size:           2
        .value_kind:     hidden_remainder_x
      - .offset:         84
        .size:           2
        .value_kind:     hidden_remainder_y
      - .offset:         86
        .size:           2
        .value_kind:     hidden_remainder_z
      - .offset:         104
        .size:           8
        .value_kind:     hidden_global_offset_x
      - .offset:         112
        .size:           8
        .value_kind:     hidden_global_offset_y
      - .offset:         120
        .size:           8
        .value_kind:     hidden_global_offset_z
      - .offset:         128
        .size:           2
        .value_kind:     hidden_grid_dims
    .group_segment_fixed_size: 0
    .kernarg_segment_align: 8
    .kernarg_segment_size: 320
    .language:       OpenCL C
    .language_version:
      - 2
      - 0
    .max_flat_workgroup_size: 1024
    .name:           _ZN2at6native12_GLOBAL__N_149max_pool3d_with_indices_backward_single_out_frameIdEEvPT_PKS3_PKliiiiiiiiib
    .private_segment_fixed_size: 0
    .sgpr_count:     34
    .sgpr_spill_count: 0
    .symbol:         _ZN2at6native12_GLOBAL__N_149max_pool3d_with_indices_backward_single_out_frameIdEEvPT_PKS3_PKliiiiiiiiib.kd
    .uniform_work_group_size: 1
    .uses_dynamic_stack: false
    .vgpr_count:     15
    .vgpr_spill_count: 0
    .wavefront_size: 64
  - .args:
      - .address_space:  global
        .offset:         0
        .size:           8
        .value_kind:     global_buffer
      - .address_space:  global
        .offset:         8
        .size:           8
        .value_kind:     global_buffer
      - .address_space:  global
        .offset:         16
        .size:           8
        .value_kind:     global_buffer
      - .offset:         24
        .size:           4
        .value_kind:     by_value
      - .offset:         28
        .size:           4
        .value_kind:     by_value
      - .offset:         32
        .size:           4
        .value_kind:     by_value
      - .offset:         36
        .size:           4
        .value_kind:     by_value
      - .offset:         40
        .size:           4
        .value_kind:     by_value
      - .offset:         44
        .size:           4
        .value_kind:     by_value
      - .offset:         48
        .size:           4
        .value_kind:     by_value
      - .offset:         52
        .size:           4
        .value_kind:     by_value
      - .offset:         56
        .size:           4
        .value_kind:     by_value
      - .offset:         60
        .size:           1
        .value_kind:     by_value
      - .offset:         64
        .size:           4
        .value_kind:     hidden_block_count_x
      - .offset:         68
        .size:           4
        .value_kind:     hidden_block_count_y
      - .offset:         72
        .size:           4
        .value_kind:     hidden_block_count_z
      - .offset:         76
        .size:           2
        .value_kind:     hidden_group_size_x
      - .offset:         78
        .size:           2
        .value_kind:     hidden_group_size_y
      - .offset:         80
        .size:           2
        .value_kind:     hidden_group_size_z
      - .offset:         82
        .size:           2
        .value_kind:     hidden_remainder_x
      - .offset:         84
        .size:           2
        .value_kind:     hidden_remainder_y
      - .offset:         86
        .size:           2
        .value_kind:     hidden_remainder_z
      - .offset:         104
        .size:           8
        .value_kind:     hidden_global_offset_x
      - .offset:         112
        .size:           8
        .value_kind:     hidden_global_offset_y
      - .offset:         120
        .size:           8
        .value_kind:     hidden_global_offset_z
      - .offset:         128
        .size:           2
        .value_kind:     hidden_grid_dims
    .group_segment_fixed_size: 0
    .kernarg_segment_align: 8
    .kernarg_segment_size: 320
    .language:       OpenCL C
    .language_version:
      - 2
      - 0
    .max_flat_workgroup_size: 1024
    .name:           _ZN2at6native12_GLOBAL__N_149max_pool3d_with_indices_backward_single_out_frameIfEEvPT_PKS3_PKliiiiiiiiib
    .private_segment_fixed_size: 0
    .sgpr_count:     34
    .sgpr_spill_count: 0
    .symbol:         _ZN2at6native12_GLOBAL__N_149max_pool3d_with_indices_backward_single_out_frameIfEEvPT_PKS3_PKliiiiiiiiib.kd
    .uniform_work_group_size: 1
    .uses_dynamic_stack: false
    .vgpr_count:     15
    .vgpr_spill_count: 0
    .wavefront_size: 64
  - .args:
      - .address_space:  global
        .offset:         0
        .size:           8
        .value_kind:     global_buffer
      - .address_space:  global
        .offset:         8
        .size:           8
        .value_kind:     global_buffer
      - .address_space:  global
        .offset:         16
        .size:           8
        .value_kind:     global_buffer
      - .offset:         24
        .size:           4
        .value_kind:     by_value
      - .offset:         28
        .size:           4
        .value_kind:     by_value
      - .offset:         32
        .size:           4
        .value_kind:     by_value
      - .offset:         36
        .size:           4
        .value_kind:     by_value
      - .offset:         40
        .size:           4
        .value_kind:     by_value
      - .offset:         44
        .size:           4
        .value_kind:     by_value
      - .offset:         48
        .size:           4
        .value_kind:     by_value
      - .offset:         52
        .size:           4
        .value_kind:     by_value
      - .offset:         56
        .size:           4
        .value_kind:     by_value
      - .offset:         60
        .size:           1
        .value_kind:     by_value
      - .offset:         64
        .size:           4
        .value_kind:     hidden_block_count_x
      - .offset:         68
        .size:           4
        .value_kind:     hidden_block_count_y
      - .offset:         72
        .size:           4
        .value_kind:     hidden_block_count_z
      - .offset:         76
        .size:           2
        .value_kind:     hidden_group_size_x
      - .offset:         78
        .size:           2
        .value_kind:     hidden_group_size_y
      - .offset:         80
        .size:           2
        .value_kind:     hidden_group_size_z
      - .offset:         82
        .size:           2
        .value_kind:     hidden_remainder_x
      - .offset:         84
        .size:           2
        .value_kind:     hidden_remainder_y
      - .offset:         86
        .size:           2
        .value_kind:     hidden_remainder_z
      - .offset:         104
        .size:           8
        .value_kind:     hidden_global_offset_x
      - .offset:         112
        .size:           8
        .value_kind:     hidden_global_offset_y
      - .offset:         120
        .size:           8
        .value_kind:     hidden_global_offset_z
      - .offset:         128
        .size:           2
        .value_kind:     hidden_grid_dims
    .group_segment_fixed_size: 0
    .kernarg_segment_align: 8
    .kernarg_segment_size: 320
    .language:       OpenCL C
    .language_version:
      - 2
      - 0
    .max_flat_workgroup_size: 1024
    .name:           _ZN2at6native12_GLOBAL__N_149max_pool3d_with_indices_backward_single_out_frameIN3c104HalfEEEvPT_PKS5_PKliiiiiiiiib
    .private_segment_fixed_size: 0
    .sgpr_count:     34
    .sgpr_spill_count: 0
    .symbol:         _ZN2at6native12_GLOBAL__N_149max_pool3d_with_indices_backward_single_out_frameIN3c104HalfEEEvPT_PKS5_PKliiiiiiiiib.kd
    .uniform_work_group_size: 1
    .uses_dynamic_stack: false
    .vgpr_count:     15
    .vgpr_spill_count: 0
    .wavefront_size: 64
  - .args:
      - .address_space:  global
        .offset:         0
        .size:           8
        .value_kind:     global_buffer
      - .address_space:  global
        .offset:         8
        .size:           8
        .value_kind:     global_buffer
      - .address_space:  global
        .offset:         16
        .size:           8
        .value_kind:     global_buffer
      - .offset:         24
        .size:           4
        .value_kind:     by_value
      - .offset:         28
        .size:           4
        .value_kind:     by_value
      - .offset:         32
        .size:           4
        .value_kind:     by_value
      - .offset:         36
        .size:           4
        .value_kind:     by_value
      - .offset:         40
        .size:           4
        .value_kind:     by_value
      - .offset:         44
        .size:           4
        .value_kind:     by_value
      - .offset:         48
        .size:           4
        .value_kind:     by_value
      - .offset:         52
        .size:           4
        .value_kind:     by_value
      - .offset:         56
        .size:           4
        .value_kind:     by_value
      - .offset:         60
        .size:           1
        .value_kind:     by_value
      - .offset:         64
        .size:           4
        .value_kind:     hidden_block_count_x
      - .offset:         68
        .size:           4
        .value_kind:     hidden_block_count_y
      - .offset:         72
        .size:           4
        .value_kind:     hidden_block_count_z
      - .offset:         76
        .size:           2
        .value_kind:     hidden_group_size_x
      - .offset:         78
        .size:           2
        .value_kind:     hidden_group_size_y
      - .offset:         80
        .size:           2
        .value_kind:     hidden_group_size_z
      - .offset:         82
        .size:           2
        .value_kind:     hidden_remainder_x
      - .offset:         84
        .size:           2
        .value_kind:     hidden_remainder_y
      - .offset:         86
        .size:           2
        .value_kind:     hidden_remainder_z
      - .offset:         104
        .size:           8
        .value_kind:     hidden_global_offset_x
      - .offset:         112
        .size:           8
        .value_kind:     hidden_global_offset_y
      - .offset:         120
        .size:           8
        .value_kind:     hidden_global_offset_z
      - .offset:         128
        .size:           2
        .value_kind:     hidden_grid_dims
    .group_segment_fixed_size: 0
    .kernarg_segment_align: 8
    .kernarg_segment_size: 320
    .language:       OpenCL C
    .language_version:
      - 2
      - 0
    .max_flat_workgroup_size: 1024
    .name:           _ZN2at6native12_GLOBAL__N_149max_pool3d_with_indices_backward_single_out_frameIN3c108BFloat16EEEvPT_PKS5_PKliiiiiiiiib
    .private_segment_fixed_size: 0
    .sgpr_count:     34
    .sgpr_spill_count: 0
    .symbol:         _ZN2at6native12_GLOBAL__N_149max_pool3d_with_indices_backward_single_out_frameIN3c108BFloat16EEEvPT_PKS5_PKliiiiiiiiib.kd
    .uniform_work_group_size: 1
    .uses_dynamic_stack: false
    .vgpr_count:     15
    .vgpr_spill_count: 0
    .wavefront_size: 64
amdhsa.target:   amdgcn-amd-amdhsa--gfx906
amdhsa.version:
  - 1
  - 2
...

	.end_amdgpu_metadata
